;; amdgpu-corpus repo=ROCm/rocFFT kind=compiled arch=gfx906 opt=O3
	.text
	.amdgcn_target "amdgcn-amd-amdhsa--gfx906"
	.amdhsa_code_object_version 6
	.protected	fft_rtc_back_len1683_factors_17_3_11_3_wgs_51_tpt_51_halfLds_half_op_CI_CI_unitstride_sbrr_dirReg ; -- Begin function fft_rtc_back_len1683_factors_17_3_11_3_wgs_51_tpt_51_halfLds_half_op_CI_CI_unitstride_sbrr_dirReg
	.globl	fft_rtc_back_len1683_factors_17_3_11_3_wgs_51_tpt_51_halfLds_half_op_CI_CI_unitstride_sbrr_dirReg
	.p2align	8
	.type	fft_rtc_back_len1683_factors_17_3_11_3_wgs_51_tpt_51_halfLds_half_op_CI_CI_unitstride_sbrr_dirReg,@function
fft_rtc_back_len1683_factors_17_3_11_3_wgs_51_tpt_51_halfLds_half_op_CI_CI_unitstride_sbrr_dirReg: ; @fft_rtc_back_len1683_factors_17_3_11_3_wgs_51_tpt_51_halfLds_half_op_CI_CI_unitstride_sbrr_dirReg
; %bb.0:
	s_load_dwordx4 s[8:11], s[4:5], 0x58
	s_load_dwordx4 s[12:15], s[4:5], 0x0
	;; [unrolled: 1-line block ×3, first 2 shown]
	v_mul_u32_u24_e32 v1, 0x506, v0
	v_mov_b32_e32 v5, 0
	v_mov_b32_e32 v7, 0
	s_waitcnt lgkmcnt(0)
	v_cmp_lt_u64_e64 s[0:1], s[14:15], 2
	v_add_u32_sdwa v9, s6, v1 dst_sel:DWORD dst_unused:UNUSED_PAD src0_sel:DWORD src1_sel:WORD_1
	v_mov_b32_e32 v10, v5
	s_and_b64 vcc, exec, s[0:1]
	v_mov_b32_e32 v8, 0
	s_cbranch_vccnz .LBB0_8
; %bb.1:
	s_load_dwordx2 s[0:1], s[4:5], 0x10
	s_add_u32 s2, s18, 8
	s_addc_u32 s3, s19, 0
	s_add_u32 s6, s16, 8
	s_addc_u32 s7, s17, 0
	v_mov_b32_e32 v7, 0
	s_waitcnt lgkmcnt(0)
	s_add_u32 s20, s0, 8
	v_mov_b32_e32 v8, 0
	v_mov_b32_e32 v1, v7
	s_addc_u32 s21, s1, 0
	s_mov_b64 s[22:23], 1
	v_mov_b32_e32 v2, v8
.LBB0_2:                                ; =>This Inner Loop Header: Depth=1
	s_load_dwordx2 s[24:25], s[20:21], 0x0
                                        ; implicit-def: $vgpr3_vgpr4
	s_waitcnt lgkmcnt(0)
	v_or_b32_e32 v6, s25, v10
	v_cmp_ne_u64_e32 vcc, 0, v[5:6]
	s_and_saveexec_b64 s[0:1], vcc
	s_xor_b64 s[26:27], exec, s[0:1]
	s_cbranch_execz .LBB0_4
; %bb.3:                                ;   in Loop: Header=BB0_2 Depth=1
	v_cvt_f32_u32_e32 v3, s24
	v_cvt_f32_u32_e32 v4, s25
	s_sub_u32 s0, 0, s24
	s_subb_u32 s1, 0, s25
	v_mac_f32_e32 v3, 0x4f800000, v4
	v_rcp_f32_e32 v3, v3
	v_mul_f32_e32 v3, 0x5f7ffffc, v3
	v_mul_f32_e32 v4, 0x2f800000, v3
	v_trunc_f32_e32 v4, v4
	v_mac_f32_e32 v3, 0xcf800000, v4
	v_cvt_u32_f32_e32 v4, v4
	v_cvt_u32_f32_e32 v3, v3
	v_mul_lo_u32 v6, s0, v4
	v_mul_hi_u32 v11, s0, v3
	v_mul_lo_u32 v13, s1, v3
	v_mul_lo_u32 v12, s0, v3
	v_add_u32_e32 v6, v11, v6
	v_add_u32_e32 v6, v6, v13
	v_mul_hi_u32 v11, v3, v12
	v_mul_lo_u32 v13, v3, v6
	v_mul_hi_u32 v15, v3, v6
	v_mul_hi_u32 v14, v4, v12
	v_mul_lo_u32 v12, v4, v12
	v_mul_hi_u32 v16, v4, v6
	v_add_co_u32_e32 v11, vcc, v11, v13
	v_addc_co_u32_e32 v13, vcc, 0, v15, vcc
	v_mul_lo_u32 v6, v4, v6
	v_add_co_u32_e32 v11, vcc, v11, v12
	v_addc_co_u32_e32 v11, vcc, v13, v14, vcc
	v_addc_co_u32_e32 v12, vcc, 0, v16, vcc
	v_add_co_u32_e32 v6, vcc, v11, v6
	v_addc_co_u32_e32 v11, vcc, 0, v12, vcc
	v_add_co_u32_e32 v3, vcc, v3, v6
	v_addc_co_u32_e32 v4, vcc, v4, v11, vcc
	v_mul_lo_u32 v6, s0, v4
	v_mul_hi_u32 v11, s0, v3
	v_mul_lo_u32 v12, s1, v3
	v_mul_lo_u32 v13, s0, v3
	v_add_u32_e32 v6, v11, v6
	v_add_u32_e32 v6, v6, v12
	v_mul_lo_u32 v14, v3, v6
	v_mul_hi_u32 v15, v3, v13
	v_mul_hi_u32 v16, v3, v6
	v_mul_hi_u32 v12, v4, v13
	v_mul_lo_u32 v13, v4, v13
	v_mul_hi_u32 v11, v4, v6
	v_add_co_u32_e32 v14, vcc, v15, v14
	v_addc_co_u32_e32 v15, vcc, 0, v16, vcc
	v_mul_lo_u32 v6, v4, v6
	v_add_co_u32_e32 v13, vcc, v14, v13
	v_addc_co_u32_e32 v12, vcc, v15, v12, vcc
	v_addc_co_u32_e32 v11, vcc, 0, v11, vcc
	v_add_co_u32_e32 v6, vcc, v12, v6
	v_addc_co_u32_e32 v11, vcc, 0, v11, vcc
	v_add_co_u32_e32 v6, vcc, v3, v6
	v_addc_co_u32_e32 v11, vcc, v4, v11, vcc
	v_mad_u64_u32 v[3:4], s[0:1], v9, v11, 0
	v_mul_hi_u32 v12, v9, v6
	v_add_co_u32_e32 v13, vcc, v12, v3
	v_addc_co_u32_e32 v14, vcc, 0, v4, vcc
	v_mad_u64_u32 v[3:4], s[0:1], v10, v6, 0
	v_mad_u64_u32 v[11:12], s[0:1], v10, v11, 0
	v_add_co_u32_e32 v3, vcc, v13, v3
	v_addc_co_u32_e32 v3, vcc, v14, v4, vcc
	v_addc_co_u32_e32 v4, vcc, 0, v12, vcc
	v_add_co_u32_e32 v6, vcc, v3, v11
	v_addc_co_u32_e32 v11, vcc, 0, v4, vcc
	v_mul_lo_u32 v12, s25, v6
	v_mul_lo_u32 v13, s24, v11
	v_mad_u64_u32 v[3:4], s[0:1], s24, v6, 0
	v_add3_u32 v4, v4, v13, v12
	v_sub_u32_e32 v12, v10, v4
	v_mov_b32_e32 v13, s25
	v_sub_co_u32_e32 v3, vcc, v9, v3
	v_subb_co_u32_e64 v12, s[0:1], v12, v13, vcc
	v_subrev_co_u32_e64 v13, s[0:1], s24, v3
	v_subbrev_co_u32_e64 v12, s[0:1], 0, v12, s[0:1]
	v_cmp_le_u32_e64 s[0:1], s25, v12
	v_cndmask_b32_e64 v14, 0, -1, s[0:1]
	v_cmp_le_u32_e64 s[0:1], s24, v13
	v_cndmask_b32_e64 v13, 0, -1, s[0:1]
	v_cmp_eq_u32_e64 s[0:1], s25, v12
	v_cndmask_b32_e64 v12, v14, v13, s[0:1]
	v_add_co_u32_e64 v13, s[0:1], 2, v6
	v_addc_co_u32_e64 v14, s[0:1], 0, v11, s[0:1]
	v_add_co_u32_e64 v15, s[0:1], 1, v6
	v_addc_co_u32_e64 v16, s[0:1], 0, v11, s[0:1]
	v_subb_co_u32_e32 v4, vcc, v10, v4, vcc
	v_cmp_ne_u32_e64 s[0:1], 0, v12
	v_cmp_le_u32_e32 vcc, s25, v4
	v_cndmask_b32_e64 v12, v16, v14, s[0:1]
	v_cndmask_b32_e64 v14, 0, -1, vcc
	v_cmp_le_u32_e32 vcc, s24, v3
	v_cndmask_b32_e64 v3, 0, -1, vcc
	v_cmp_eq_u32_e32 vcc, s25, v4
	v_cndmask_b32_e32 v3, v14, v3, vcc
	v_cmp_ne_u32_e32 vcc, 0, v3
	v_cndmask_b32_e64 v3, v15, v13, s[0:1]
	v_cndmask_b32_e32 v4, v11, v12, vcc
	v_cndmask_b32_e32 v3, v6, v3, vcc
.LBB0_4:                                ;   in Loop: Header=BB0_2 Depth=1
	s_andn2_saveexec_b64 s[0:1], s[26:27]
	s_cbranch_execz .LBB0_6
; %bb.5:                                ;   in Loop: Header=BB0_2 Depth=1
	v_cvt_f32_u32_e32 v3, s24
	s_sub_i32 s26, 0, s24
	v_rcp_iflag_f32_e32 v3, v3
	v_mul_f32_e32 v3, 0x4f7ffffe, v3
	v_cvt_u32_f32_e32 v3, v3
	v_mul_lo_u32 v4, s26, v3
	v_mul_hi_u32 v4, v3, v4
	v_add_u32_e32 v3, v3, v4
	v_mul_hi_u32 v3, v9, v3
	v_mul_lo_u32 v4, v3, s24
	v_add_u32_e32 v6, 1, v3
	v_sub_u32_e32 v4, v9, v4
	v_subrev_u32_e32 v11, s24, v4
	v_cmp_le_u32_e32 vcc, s24, v4
	v_cndmask_b32_e32 v4, v4, v11, vcc
	v_cndmask_b32_e32 v3, v3, v6, vcc
	v_add_u32_e32 v6, 1, v3
	v_cmp_le_u32_e32 vcc, s24, v4
	v_cndmask_b32_e32 v3, v3, v6, vcc
	v_mov_b32_e32 v4, v5
.LBB0_6:                                ;   in Loop: Header=BB0_2 Depth=1
	s_or_b64 exec, exec, s[0:1]
	v_mul_lo_u32 v6, v4, s24
	v_mul_lo_u32 v13, v3, s25
	v_mad_u64_u32 v[11:12], s[0:1], v3, s24, 0
	s_load_dwordx2 s[0:1], s[6:7], 0x0
	s_load_dwordx2 s[24:25], s[2:3], 0x0
	v_add3_u32 v6, v12, v13, v6
	v_sub_co_u32_e32 v9, vcc, v9, v11
	v_subb_co_u32_e32 v6, vcc, v10, v6, vcc
	s_waitcnt lgkmcnt(0)
	v_mul_lo_u32 v10, s0, v6
	v_mul_lo_u32 v11, s1, v9
	v_mad_u64_u32 v[7:8], s[0:1], s0, v9, v[7:8]
	s_add_u32 s22, s22, 1
	s_addc_u32 s23, s23, 0
	s_add_u32 s2, s2, 8
	v_mul_lo_u32 v6, s24, v6
	v_mul_lo_u32 v12, s25, v9
	v_mad_u64_u32 v[1:2], s[0:1], s24, v9, v[1:2]
	v_add3_u32 v8, v11, v8, v10
	s_addc_u32 s3, s3, 0
	v_mov_b32_e32 v9, s14
	s_add_u32 s6, s6, 8
	v_mov_b32_e32 v10, s15
	s_addc_u32 s7, s7, 0
	v_cmp_ge_u64_e32 vcc, s[22:23], v[9:10]
	s_add_u32 s20, s20, 8
	v_add3_u32 v2, v12, v2, v6
	s_addc_u32 s21, s21, 0
	s_cbranch_vccnz .LBB0_9
; %bb.7:                                ;   in Loop: Header=BB0_2 Depth=1
	v_mov_b32_e32 v10, v4
	v_mov_b32_e32 v9, v3
	s_branch .LBB0_2
.LBB0_8:
	v_mov_b32_e32 v1, v7
	v_mov_b32_e32 v3, v9
	;; [unrolled: 1-line block ×4, first 2 shown]
.LBB0_9:
	s_load_dwordx2 s[4:5], s[4:5], 0x28
	s_lshl_b64 s[6:7], s[14:15], 3
	s_add_u32 s2, s18, s6
	s_addc_u32 s3, s19, s7
                                        ; implicit-def: $sgpr14
                                        ; implicit-def: $vgpr11
	s_waitcnt lgkmcnt(0)
	v_cmp_gt_u64_e64 s[0:1], s[4:5], v[3:4]
	v_cmp_le_u64_e32 vcc, s[4:5], v[3:4]
	s_and_saveexec_b64 s[4:5], vcc
	s_xor_b64 s[4:5], exec, s[4:5]
; %bb.10:
	s_mov_b32 s14, 0x5050506
	v_mul_hi_u32 v5, v0, s14
	s_mov_b32 s14, 0
                                        ; implicit-def: $vgpr7_vgpr8
	v_mul_u32_u24_e32 v5, 51, v5
	v_sub_u32_e32 v11, v0, v5
                                        ; implicit-def: $vgpr0
; %bb.11:
	s_or_saveexec_b64 s[4:5], s[4:5]
	s_load_dwordx2 s[2:3], s[2:3], 0x0
	v_mov_b32_e32 v5, s14
	v_mov_b32_e32 v6, s14
                                        ; implicit-def: $vgpr9
                                        ; implicit-def: $vgpr63
                                        ; implicit-def: $vgpr10
                                        ; implicit-def: $vgpr44
                                        ; implicit-def: $vgpr60
                                        ; implicit-def: $vgpr45
                                        ; implicit-def: $vgpr61
                                        ; implicit-def: $vgpr46
                                        ; implicit-def: $vgpr62
                                        ; implicit-def: $vgpr47
                                        ; implicit-def: $vgpr64
                                        ; implicit-def: $vgpr48
                                        ; implicit-def: $vgpr65
                                        ; implicit-def: $vgpr49
                                        ; implicit-def: $vgpr66
                                        ; implicit-def: $vgpr50
                                        ; implicit-def: $vgpr67
                                        ; implicit-def: $vgpr51
                                        ; implicit-def: $vgpr68
                                        ; implicit-def: $vgpr52
                                        ; implicit-def: $vgpr69
                                        ; implicit-def: $vgpr53
                                        ; implicit-def: $vgpr70
                                        ; implicit-def: $vgpr54
                                        ; implicit-def: $vgpr71
                                        ; implicit-def: $vgpr55
                                        ; implicit-def: $vgpr72
                                        ; implicit-def: $vgpr56
                                        ; implicit-def: $vgpr73
                                        ; implicit-def: $vgpr57
                                        ; implicit-def: $vgpr37
                                        ; implicit-def: $vgpr12
                                        ; implicit-def: $vgpr36
                                        ; implicit-def: $vgpr13
                                        ; implicit-def: $vgpr35
                                        ; implicit-def: $vgpr14
                                        ; implicit-def: $vgpr33
                                        ; implicit-def: $vgpr15
                                        ; implicit-def: $vgpr32
                                        ; implicit-def: $vgpr16
                                        ; implicit-def: $vgpr31
                                        ; implicit-def: $vgpr17
                                        ; implicit-def: $vgpr29
                                        ; implicit-def: $vgpr18
                                        ; implicit-def: $vgpr27
                                        ; implicit-def: $vgpr19
                                        ; implicit-def: $vgpr30
                                        ; implicit-def: $vgpr20
                                        ; implicit-def: $vgpr34
                                        ; implicit-def: $vgpr21
                                        ; implicit-def: $vgpr43
                                        ; implicit-def: $vgpr28
                                        ; implicit-def: $vgpr42
                                        ; implicit-def: $vgpr26
                                        ; implicit-def: $vgpr41
                                        ; implicit-def: $vgpr25
                                        ; implicit-def: $vgpr40
                                        ; implicit-def: $vgpr24
                                        ; implicit-def: $vgpr39
                                        ; implicit-def: $vgpr23
                                        ; implicit-def: $vgpr38
                                        ; implicit-def: $vgpr22
                                        ; implicit-def: $vgpr75
                                        ; implicit-def: $vgpr59
                                        ; implicit-def: $vgpr74
                                        ; implicit-def: $vgpr58
	s_xor_b64 exec, exec, s[4:5]
	s_cbranch_execz .LBB0_15
; %bb.12:
	s_add_u32 s6, s16, s6
	s_addc_u32 s7, s17, s7
	s_load_dwordx2 s[6:7], s[6:7], 0x0
	s_mov_b32 s14, 0x5050506
	v_mul_hi_u32 v9, v0, s14
                                        ; implicit-def: $vgpr22
                                        ; implicit-def: $vgpr38
                                        ; implicit-def: $vgpr23
                                        ; implicit-def: $vgpr39
                                        ; implicit-def: $vgpr24
                                        ; implicit-def: $vgpr40
                                        ; implicit-def: $vgpr25
                                        ; implicit-def: $vgpr41
                                        ; implicit-def: $vgpr26
                                        ; implicit-def: $vgpr42
                                        ; implicit-def: $vgpr28
                                        ; implicit-def: $vgpr43
                                        ; implicit-def: $vgpr21
                                        ; implicit-def: $vgpr34
                                        ; implicit-def: $vgpr20
                                        ; implicit-def: $vgpr30
                                        ; implicit-def: $vgpr19
                                        ; implicit-def: $vgpr27
                                        ; implicit-def: $vgpr18
                                        ; implicit-def: $vgpr29
                                        ; implicit-def: $vgpr17
                                        ; implicit-def: $vgpr31
                                        ; implicit-def: $vgpr16
                                        ; implicit-def: $vgpr32
                                        ; implicit-def: $vgpr15
                                        ; implicit-def: $vgpr33
                                        ; implicit-def: $vgpr14
                                        ; implicit-def: $vgpr35
                                        ; implicit-def: $vgpr13
                                        ; implicit-def: $vgpr36
                                        ; implicit-def: $vgpr37
	s_waitcnt lgkmcnt(0)
	v_mul_lo_u32 v10, s7, v3
	v_mul_lo_u32 v12, s6, v4
	v_mad_u64_u32 v[5:6], s[6:7], s6, v3, 0
	v_mul_u32_u24_e32 v9, 51, v9
	v_sub_u32_e32 v11, v0, v9
	v_add3_u32 v6, v6, v12, v10
	v_lshlrev_b64 v[5:6], 2, v[5:6]
	v_mov_b32_e32 v0, s9
	v_add_co_u32_e32 v9, vcc, s8, v5
	v_addc_co_u32_e32 v10, vcc, v0, v6, vcc
	v_lshlrev_b64 v[5:6], 2, v[7:8]
	s_movk_i32 s6, 0x1000
	v_add_co_u32_e32 v0, vcc, v9, v5
	v_addc_co_u32_e32 v60, vcc, v10, v6, vcc
	v_lshlrev_b32_e32 v5, 2, v11
	v_add_co_u32_e32 v7, vcc, v0, v5
	v_addc_co_u32_e32 v8, vcc, 0, v60, vcc
	v_add_co_u32_e32 v9, vcc, s6, v7
	global_load_dword v63, v[7:8], off
	global_load_dword v44, v[7:8], off offset:396
	global_load_dword v45, v[7:8], off offset:792
	;; [unrolled: 1-line block ×7, first 2 shown]
	v_addc_co_u32_e32 v10, vcc, 0, v8, vcc
	global_load_dword v51, v[7:8], off offset:3168
	global_load_dword v58, v[7:8], off offset:3564
	;; [unrolled: 1-line block ×9, first 2 shown]
	v_mov_b32_e32 v6, 0
	v_cmp_gt_u32_e32 vcc, 48, v11
	v_mov_b32_e32 v5, 0
                                        ; implicit-def: $vgpr12
	s_and_saveexec_b64 s[6:7], vcc
	s_cbranch_execz .LBB0_14
; %bb.13:
	v_or_b32_e32 v5, 0x600, v11
	v_lshlrev_b64 v[5:6], 2, v[5:6]
	global_load_dword v61, v[7:8], off offset:204
	global_load_dword v12, v[7:8], off offset:600
	;; [unrolled: 1-line block ×8, first 2 shown]
	v_add_co_u32_e32 v5, vcc, v0, v5
	v_addc_co_u32_e32 v6, vcc, v60, v6, vcc
	global_load_dword v19, v[7:8], off offset:3372
	global_load_dword v20, v[7:8], off offset:3768
	;; [unrolled: 1-line block ×8, first 2 shown]
	global_load_dword v26, v[5:6], off
	s_waitcnt vmcnt(16)
	v_lshrrev_b32_e32 v5, 16, v61
	s_waitcnt vmcnt(15)
	v_lshrrev_b32_e32 v37, 16, v12
	;; [unrolled: 2-line block ×17, first 2 shown]
	v_mov_b32_e32 v6, v61
.LBB0_14:
	s_or_b64 exec, exec, s[6:7]
	s_waitcnt vmcnt(16)
	v_lshrrev_b32_e32 v9, 16, v63
	s_waitcnt vmcnt(15)
	v_lshrrev_b32_e32 v10, 16, v44
	;; [unrolled: 2-line block ×17, first 2 shown]
.LBB0_15:
	s_or_b64 exec, exec, s[4:5]
	v_sub_f16_e32 v7, v10, v73
	s_mov_b32 s43, 0xb964b5c8
	v_add_f16_e32 v0, v44, v57
	v_sub_f16_e32 v8, v60, v72
	s_mov_b32 s6, 0x39e93b76
	v_pk_mul_f16 v92, v7, s43 op_sel_hi:[0,1]
	s_mov_b32 s47, 0xbbf7b964
	v_add_f16_e32 v80, v45, v56
	v_sub_f16_e32 v79, v61, v71
	v_pk_fma_f16 v76, v0, s6, v92 op_sel_hi:[0,1,1]
	s_mov_b32 s14, 0x2de839e9
	v_pk_mul_f16 v93, v8, s47 op_sel_hi:[0,1]
	s_mov_b32 s51, 0xba62bb29
	v_add_f16_e32 v81, v46, v55
	v_sub_f16_e32 v83, v62, v70
	v_pk_add_f16 v76, v76, v63 op_sel_hi:[1,0]
	v_pk_fma_f16 v77, v80, s14, v93 op_sel_hi:[0,1,1]
	s_mov_b32 s18, 0xb8d23722
	v_pk_mul_f16 v94, v79, s51 op_sel_hi:[0,1]
	s_mov_b32 s55, 0xb1e1bbf7
	v_add_f16_e32 v82, v47, v54
	v_sub_f16_e32 v85, v64, v69
	v_pk_add_f16 v76, v77, v76
	v_pk_fma_f16 v77, v81, s18, v94 op_sel_hi:[0,1,1]
	s_mov_b32 s22, 0xbbdd2de8
	v_pk_mul_f16 v95, v83, s55 op_sel_hi:[0,1]
	s_mov_b32 s59, 0x3836bbb2
	v_add_f16_e32 v84, v48, v53
	v_sub_f16_e32 v87, v65, v68
	v_pk_add_f16 v76, v77, v76
	;; [unrolled: 7-line block ×4, first 2 shown]
	v_pk_fma_f16 v77, v86, s30, v97 op_sel_hi:[0,1,1]
	s_mov_b32 s35, 0x3722bacd
	v_pk_mul_f16 v98, v89, s67 op_sel_hi:[0,1]
	s_mov_b32 s71, 0x35c8b1e1
	v_add_f16_e32 v90, v58, v51
	v_pk_add_f16 v76, v77, v76
	v_pk_fma_f16 v77, v88, s35, v98 op_sel_hi:[0,1,1]
	s_mov_b32 s39, 0x3b76bbdd
	v_pk_mul_f16 v99, v91, s71 op_sel_hi:[0,1]
	s_mov_b32 s44, 0xbbf7bb29
	v_pk_add_f16 v76, v76, v77
	v_pk_fma_f16 v77, v90, s39, v99 op_sel_hi:[0,1,1]
	s_mov_b32 s7, 0x2de83722
	v_pk_mul_f16 v100, v7, s44 op_sel_hi:[0,1]
	s_mov_b32 s48, 0xb1e1ba62
	;; [unrolled: 5-line block ×3, first 2 shown]
	v_pk_add_f16 v77, v77, v63 op_sel_hi:[1,0]
	v_pk_fma_f16 v78, v80, s15, v101 op_sel_hi:[0,1,1]
	s_mov_b32 s19, 0xb461bbdd
	v_pk_mul_f16 v102, v79, s52 op_sel_hi:[0,1]
	s_mov_b32 s56, 0x35c83bb2
	v_pk_add_f16 v77, v78, v77
	v_pk_fma_f16 v78, v81, s19, v102 op_sel_hi:[0,1,1]
	s_mov_b32 s23, 0x3b76b461
	v_pk_mul_f16 v103, v83, s56 op_sel_hi:[0,1]
	s_mov_b32 s60, 0xbb293964
	v_pk_add_f16 v77, v78, v77
	;; [unrolled: 5-line block ×7, first 2 shown]
	v_pk_fma_f16 v78, v0, s8, v108 op_sel_hi:[0,1,1]
	s_mov_b32 s16, 0xb461bacd
	v_pk_mul_f16 v109, v8, s49 op_sel_hi:[0,1]
	v_pk_add_f16 v78, v78, v63 op_sel_hi:[1,0]
	v_pk_fma_f16 v110, v80, s16, v109 op_sel_hi:[0,1,1]
	s_mov_b32 s53, 0xb5c83964
	v_pk_add_f16 v78, v110, v78
	s_mov_b32 s20, 0x3b7639e9
	v_pk_mul_f16 v110, v79, s53 op_sel_hi:[0,1]
	v_pk_fma_f16 v111, v81, s20, v110 op_sel_hi:[0,1,1]
	s_mov_b32 s57, 0xb836bb29
	v_pk_add_f16 v78, v111, v78
	s_mov_b32 s24, 0xbacd3722
	v_pk_mul_f16 v111, v83, s57 op_sel_hi:[0,1]
	;; [unrolled: 5-line block ×6, first 2 shown]
	s_mov_b32 s46, 0xb1e1b836
	v_pk_fma_f16 v116, v90, s41, v115 op_sel_hi:[0,1,1]
	s_mov_b32 s9, 0xbbddbacd
	v_pk_mul_f16 v7, v7, s46 op_sel_hi:[0,1]
	s_mov_b32 s50, 0x35c83b29
	v_pk_add_f16 v78, v78, v116
	v_pk_fma_f16 v116, v0, s9, v7 op_sel_hi:[0,1,1]
	s_mov_b32 s17, 0x3b763722
	v_pk_mul_f16 v117, v8, s50 op_sel_hi:[0,1]
	v_pk_add_f16 v116, v116, v63 op_sel_hi:[1,0]
	v_pk_fma_f16 v8, v80, s17, v117 op_sel_hi:[0,1,1]
	s_mov_b32 s54, 0xb836bbf7
	v_pk_add_f16 v8, v8, v116
	s_mov_b32 s21, 0xbacd2de8
	v_pk_mul_f16 v116, v79, s54 op_sel_hi:[0,1]
	s_mov_b32 s58, 0x39643a62
	v_pk_fma_f16 v79, v81, s21, v116 op_sel_hi:[0,1,1]
	s_mov_b32 s25, 0x39e9b8d2
	v_pk_mul_f16 v83, v83, s58 op_sel_hi:[0,1]
	s_mov_b32 s62, 0xba62b5c8
	v_pk_add_f16 v8, v79, v8
	v_pk_fma_f16 v79, v82, s25, v83 op_sel_hi:[0,1,1]
	s_mov_b32 s29, 0xb8d23b76
	v_pk_mul_f16 v85, v85, s62 op_sel_hi:[0,1]
	s_mov_b32 s66, 0x3b29b1e1
	v_pk_add_f16 v8, v79, v8
	;; [unrolled: 5-line block ×4, first 2 shown]
	v_pk_fma_f16 v79, v88, s38, v89 op_sel_hi:[0,1,1]
	s_mov_b32 s42, 0x2de8b461
	v_pk_mul_f16 v91, v91, s74 op_sel_hi:[0,1]
	v_pk_add_f16 v8, v8, v79
	v_pk_fma_f16 v79, v90, s42, v91 op_sel_hi:[0,1,1]
	v_pk_add_f16 v79, v8, v79
	v_mad_u32_u24 v8, v11, 34, 0
	ds_write_b128 v8, v[76:79] offset:2
	v_add_f16_e32 v76, v63, v44
	v_add_f16_e32 v76, v76, v45
	v_add_f16_e32 v76, v76, v46
	v_add_f16_e32 v76, v76, v47
	v_add_f16_e32 v76, v76, v48
	v_add_f16_e32 v76, v76, v49
	v_add_f16_e32 v76, v76, v50
	v_add_f16_e32 v76, v76, v51
	v_add_f16_e32 v76, v76, v58
	v_add_f16_e32 v76, v59, v76
	v_add_f16_e32 v76, v76, v52
	v_add_f16_e32 v76, v76, v53
	v_add_f16_e32 v76, v76, v54
	v_add_f16_e32 v76, v76, v55
	v_add_f16_e32 v76, v76, v56
	v_add_f16_e32 v76, v76, v57
	v_pk_fma_f16 v7, v0, s9, v7 op_sel_hi:[0,1,1] neg_lo:[0,0,1] neg_hi:[0,0,1]
	ds_write_b16 v8, v76
	v_pk_add_f16 v7, v7, v63 op_sel_hi:[1,0]
	v_pk_fma_f16 v76, v80, s17, v117 op_sel_hi:[0,1,1] neg_lo:[0,0,1] neg_hi:[0,0,1]
	v_pk_add_f16 v7, v76, v7
	v_pk_fma_f16 v76, v81, s21, v116 op_sel_hi:[0,1,1] neg_lo:[0,0,1] neg_hi:[0,0,1]
	v_pk_add_f16 v7, v76, v7
	;; [unrolled: 2-line block ×7, first 2 shown]
	v_alignbit_b32 v76, v7, v7, 16
	v_pk_fma_f16 v7, v0, s8, v108 op_sel_hi:[0,1,1] neg_lo:[0,0,1] neg_hi:[0,0,1]
	v_pk_add_f16 v7, v7, v63 op_sel_hi:[1,0]
	v_pk_fma_f16 v77, v80, s16, v109 op_sel_hi:[0,1,1] neg_lo:[0,0,1] neg_hi:[0,0,1]
	v_pk_add_f16 v7, v77, v7
	v_pk_fma_f16 v77, v81, s20, v110 op_sel_hi:[0,1,1] neg_lo:[0,0,1] neg_hi:[0,0,1]
	v_pk_add_f16 v7, v77, v7
	;; [unrolled: 2-line block ×7, first 2 shown]
	v_alignbit_b32 v77, v7, v7, 16
	v_pk_fma_f16 v7, v0, s7, v100 op_sel_hi:[0,1,1] neg_lo:[0,0,1] neg_hi:[0,0,1]
	v_pk_add_f16 v7, v7, v63 op_sel_hi:[1,0]
	v_pk_fma_f16 v78, v80, s15, v101 op_sel_hi:[0,1,1] neg_lo:[0,0,1] neg_hi:[0,0,1]
	v_pk_add_f16 v7, v78, v7
	v_pk_fma_f16 v78, v81, s19, v102 op_sel_hi:[0,1,1] neg_lo:[0,0,1] neg_hi:[0,0,1]
	v_pk_add_f16 v7, v78, v7
	;; [unrolled: 2-line block ×7, first 2 shown]
	v_pk_fma_f16 v0, v0, s6, v92 op_sel_hi:[0,1,1] neg_lo:[0,0,1] neg_hi:[0,0,1]
	v_alignbit_b32 v78, v7, v7, 16
	v_pk_add_f16 v0, v0, v63 op_sel_hi:[1,0]
	v_pk_fma_f16 v7, v80, s14, v93 op_sel_hi:[0,1,1] neg_lo:[0,0,1] neg_hi:[0,0,1]
	v_pk_add_f16 v0, v7, v0
	v_pk_fma_f16 v7, v81, s18, v94 op_sel_hi:[0,1,1] neg_lo:[0,0,1] neg_hi:[0,0,1]
	v_pk_add_f16 v0, v7, v0
	;; [unrolled: 2-line block ×7, first 2 shown]
	v_alignbit_b32 v79, v0, v0, 16
	v_cmp_gt_u32_e32 vcc, 48, v11
	ds_write_b128 v8, v[76:79] offset:18
	s_and_saveexec_b64 s[4:5], vcc
	s_cbranch_execz .LBB0_17
; %bb.16:
	v_add_f16_e32 v0, v6, v12
	v_add_f16_e32 v0, v0, v13
	;; [unrolled: 1-line block ×16, first 2 shown]
	v_sub_f16_e32 v63, v37, v43
	v_add_f16_e32 v7, v12, v28
	v_sub_f16_e32 v79, v36, v42
	ds_write_b16 v8, v0 offset:1734
	v_pk_mul_f16 v0, v63, s43 op_sel_hi:[0,1]
	v_add_f16_e32 v80, v13, v26
	v_sub_f16_e32 v82, v35, v41
	v_pk_mul_f16 v93, v79, s47 op_sel_hi:[0,1]
	v_pk_fma_f16 v76, v7, s6, v0 op_sel_hi:[0,1,1]
	v_add_f16_e32 v81, v14, v25
	v_sub_f16_e32 v84, v33, v40
	v_pk_mul_f16 v94, v82, s51 op_sel_hi:[0,1]
	v_pk_add_f16 v76, v6, v76 op_sel_hi:[0,1]
	v_pk_fma_f16 v77, v80, s14, v93 op_sel_hi:[0,1,1]
	v_add_f16_e32 v83, v15, v24
	v_sub_f16_e32 v86, v32, v39
	v_pk_mul_f16 v95, v84, s55 op_sel_hi:[0,1]
	v_pk_add_f16 v76, v76, v77
	v_pk_fma_f16 v77, v81, s18, v94 op_sel_hi:[0,1,1]
	v_add_f16_e32 v85, v16, v23
	v_sub_f16_e32 v88, v31, v38
	v_pk_mul_f16 v96, v86, s59 op_sel_hi:[0,1]
	v_pk_add_f16 v76, v76, v77
	;; [unrolled: 5-line block ×4, first 2 shown]
	v_pk_fma_f16 v77, v87, s30, v97 op_sel_hi:[0,1,1]
	v_add_f16_e32 v91, v19, v20
	v_pk_mul_f16 v99, v92, s71 op_sel_hi:[0,1]
	v_pk_add_f16 v76, v76, v77
	v_pk_fma_f16 v77, v89, s35, v98 op_sel_hi:[0,1,1]
	v_pk_add_f16 v76, v77, v76
	v_pk_fma_f16 v77, v91, s39, v99 op_sel_hi:[0,1,1]
	v_pk_mul_f16 v100, v63, s44 op_sel_hi:[0,1]
	v_pk_add_f16 v76, v77, v76
	v_pk_mul_f16 v101, v79, s48 op_sel_hi:[0,1]
	v_pk_fma_f16 v77, v7, s7, v100 op_sel_hi:[0,1,1]
	v_pk_mul_f16 v102, v82, s52 op_sel_hi:[0,1]
	v_pk_add_f16 v77, v6, v77 op_sel_hi:[0,1]
	v_pk_fma_f16 v78, v80, s15, v101 op_sel_hi:[0,1,1]
	v_pk_mul_f16 v103, v84, s56 op_sel_hi:[0,1]
	v_pk_add_f16 v77, v77, v78
	v_pk_fma_f16 v78, v81, s19, v102 op_sel_hi:[0,1,1]
	v_pk_mul_f16 v104, v86, s60 op_sel_hi:[0,1]
	v_pk_add_f16 v77, v77, v78
	v_pk_fma_f16 v78, v83, s23, v103 op_sel_hi:[0,1,1]
	v_pk_mul_f16 v105, v88, s64 op_sel_hi:[0,1]
	v_pk_add_f16 v77, v77, v78
	v_pk_fma_f16 v78, v85, s27, v104 op_sel_hi:[0,1,1]
	v_pk_mul_f16 v106, v90, s68 op_sel_hi:[0,1]
	v_pk_add_f16 v77, v77, v78
	v_pk_fma_f16 v78, v87, s31, v105 op_sel_hi:[0,1,1]
	v_pk_mul_f16 v107, v92, s72 op_sel_hi:[0,1]
	v_pk_add_f16 v77, v77, v78
	v_pk_fma_f16 v78, v89, s36, v106 op_sel_hi:[0,1,1]
	v_pk_add_f16 v77, v78, v77
	v_pk_fma_f16 v78, v91, s40, v107 op_sel_hi:[0,1,1]
	v_pk_mul_f16 v108, v63, s45 op_sel_hi:[0,1]
	v_pk_add_f16 v77, v78, v77
	v_pk_mul_f16 v109, v79, s49 op_sel_hi:[0,1]
	v_pk_fma_f16 v78, v7, s8, v108 op_sel_hi:[0,1,1]
	v_pk_mul_f16 v110, v82, s53 op_sel_hi:[0,1]
	v_pk_add_f16 v78, v6, v78 op_sel_hi:[0,1]
	v_pk_fma_f16 v116, v80, s16, v109 op_sel_hi:[0,1,1]
	v_pk_mul_f16 v111, v84, s57 op_sel_hi:[0,1]
	v_pk_add_f16 v78, v78, v116
	v_pk_fma_f16 v116, v81, s20, v110 op_sel_hi:[0,1,1]
	v_pk_mul_f16 v112, v86, s61 op_sel_hi:[0,1]
	v_pk_add_f16 v78, v78, v116
	v_pk_fma_f16 v116, v83, s24, v111 op_sel_hi:[0,1,1]
	v_pk_mul_f16 v113, v88, s65 op_sel_hi:[0,1]
	v_pk_add_f16 v78, v78, v116
	v_pk_fma_f16 v116, v85, s28, v112 op_sel_hi:[0,1,1]
	v_pk_mul_f16 v114, v90, s69 op_sel_hi:[0,1]
	v_pk_add_f16 v78, v78, v116
	v_pk_fma_f16 v116, v87, s33, v113 op_sel_hi:[0,1,1]
	;; [unrolled: 24-line block ×3, first 2 shown]
	v_pk_mul_f16 v92, v92, s74 op_sel_hi:[0,1]
	v_pk_add_f16 v79, v79, v117
	v_pk_fma_f16 v117, v89, s38, v90 op_sel_hi:[0,1,1]
	v_pk_add_f16 v79, v117, v79
	v_pk_fma_f16 v117, v91, s42, v92 op_sel_hi:[0,1,1]
	v_pk_add_f16 v79, v117, v79
	v_pk_fma_f16 v63, v7, s9, v63 op_sel_hi:[0,1,1] neg_lo:[0,0,1] neg_hi:[0,0,1]
	ds_write_b128 v8, v[76:79] offset:1736
	v_pk_add_f16 v63, v6, v63 op_sel_hi:[0,1]
	v_pk_fma_f16 v76, v80, s17, v116 op_sel_hi:[0,1,1] neg_lo:[0,0,1] neg_hi:[0,0,1]
	v_pk_add_f16 v63, v63, v76
	v_pk_fma_f16 v76, v81, s21, v82 op_sel_hi:[0,1,1] neg_lo:[0,0,1] neg_hi:[0,0,1]
	v_pk_add_f16 v63, v63, v76
	;; [unrolled: 2-line block ×7, first 2 shown]
	v_alignbit_b32 v76, v63, v63, 16
	v_pk_fma_f16 v63, v7, s8, v108 op_sel_hi:[0,1,1] neg_lo:[0,0,1] neg_hi:[0,0,1]
	v_pk_add_f16 v63, v6, v63 op_sel_hi:[0,1]
	v_pk_fma_f16 v77, v80, s16, v109 op_sel_hi:[0,1,1] neg_lo:[0,0,1] neg_hi:[0,0,1]
	v_pk_add_f16 v63, v63, v77
	v_pk_fma_f16 v77, v81, s20, v110 op_sel_hi:[0,1,1] neg_lo:[0,0,1] neg_hi:[0,0,1]
	v_pk_add_f16 v63, v63, v77
	;; [unrolled: 2-line block ×7, first 2 shown]
	v_alignbit_b32 v77, v63, v63, 16
	v_pk_fma_f16 v63, v7, s7, v100 op_sel_hi:[0,1,1] neg_lo:[0,0,1] neg_hi:[0,0,1]
	v_pk_fma_f16 v0, v7, s6, v0 op_sel_hi:[0,1,1] neg_lo:[0,0,1] neg_hi:[0,0,1]
	v_pk_add_f16 v63, v6, v63 op_sel_hi:[0,1]
	v_pk_fma_f16 v78, v80, s15, v101 op_sel_hi:[0,1,1] neg_lo:[0,0,1] neg_hi:[0,0,1]
	v_pk_add_f16 v0, v6, v0 op_sel_hi:[0,1]
	v_pk_fma_f16 v6, v80, s14, v93 op_sel_hi:[0,1,1] neg_lo:[0,0,1] neg_hi:[0,0,1]
	v_pk_add_f16 v63, v63, v78
	v_pk_fma_f16 v78, v81, s19, v102 op_sel_hi:[0,1,1] neg_lo:[0,0,1] neg_hi:[0,0,1]
	v_pk_add_f16 v0, v0, v6
	;; [unrolled: 2-line block ×13, first 2 shown]
	v_pk_add_f16 v0, v6, v0
	v_alignbit_b32 v78, v63, v63, 16
	v_alignbit_b32 v79, v0, v0, 16
	ds_write_b128 v8, v[76:79] offset:1752
.LBB0_17:
	s_or_b64 exec, exec, s[4:5]
	v_add_f16_e32 v0, v9, v10
	v_add_f16_e32 v0, v0, v60
	;; [unrolled: 1-line block ×15, first 2 shown]
	v_sub_f16_e32 v6, v44, v57
	v_add_f16_e32 v80, v0, v73
	v_add_f16_e32 v0, v10, v73
	v_sub_f16_e32 v10, v45, v56
	v_pk_mul_f16 v56, v6, s43 op_sel_hi:[0,1]
	v_add_f16_e32 v7, v60, v72
	v_sub_f16_e32 v51, v51, v58
	v_pk_fma_f16 v57, v0, s6, v56 op_sel_hi:[0,1,1] neg_lo:[0,0,1] neg_hi:[0,0,1]
	v_pk_mul_f16 v58, v10, s47 op_sel_hi:[0,1]
	v_sub_f16_e32 v45, v46, v55
	v_sub_f16_e32 v50, v50, v59
	v_pk_add_f16 v57, v57, v9 op_sel_hi:[1,0]
	v_pk_fma_f16 v59, v7, s14, v58 op_sel_hi:[0,1,1] neg_lo:[0,0,1] neg_hi:[0,0,1]
	v_add_f16_e32 v44, v61, v71
	v_pk_add_f16 v57, v59, v57
	v_pk_mul_f16 v59, v45, s51 op_sel_hi:[0,1]
	v_sub_f16_e32 v47, v47, v54
	v_pk_fma_f16 v60, v44, s18, v59 op_sel_hi:[0,1,1] neg_lo:[0,0,1] neg_hi:[0,0,1]
	v_add_f16_e32 v46, v62, v70
	v_pk_add_f16 v57, v60, v57
	v_pk_mul_f16 v60, v47, s55 op_sel_hi:[0,1]
	v_sub_f16_e32 v48, v48, v53
	;; [unrolled: 5-line block ×3, first 2 shown]
	v_pk_fma_f16 v62, v54, s26, v61 op_sel_hi:[0,1,1] neg_lo:[0,0,1] neg_hi:[0,0,1]
	v_add_f16_e32 v53, v65, v68
	v_pk_add_f16 v57, v62, v57
	v_pk_mul_f16 v62, v49, s63 op_sel_hi:[0,1]
	v_pk_fma_f16 v63, v53, s30, v62 op_sel_hi:[0,1,1] neg_lo:[0,0,1] neg_hi:[0,0,1]
	v_add_f16_e32 v52, v75, v66
	v_pk_add_f16 v57, v63, v57
	v_pk_mul_f16 v63, v50, s67 op_sel_hi:[0,1]
	;; [unrolled: 4-line block ×3, first 2 shown]
	v_pk_fma_f16 v65, v55, s39, v64 op_sel_hi:[0,1,1] neg_lo:[0,0,1] neg_hi:[0,0,1]
	v_pk_fma_f16 v56, v0, s6, v56 op_sel_hi:[0,1,1]
	v_pk_add_f16 v76, v57, v65
	v_pk_add_f16 v56, v56, v9 op_sel_hi:[1,0]
	v_pk_fma_f16 v57, v7, s14, v58 op_sel_hi:[0,1,1]
	v_pk_add_f16 v56, v57, v56
	v_pk_fma_f16 v57, v44, s18, v59 op_sel_hi:[0,1,1]
	v_pk_add_f16 v56, v57, v56
	;; [unrolled: 2-line block ×7, first 2 shown]
	v_pk_mul_f16 v56, v6, s44 op_sel_hi:[0,1]
	v_pk_fma_f16 v57, v0, s7, v56 op_sel_hi:[0,1,1] neg_lo:[0,0,1] neg_hi:[0,0,1]
	v_pk_mul_f16 v58, v10, s48 op_sel_hi:[0,1]
	v_pk_add_f16 v57, v57, v9 op_sel_hi:[1,0]
	v_pk_fma_f16 v59, v7, s15, v58 op_sel_hi:[0,1,1] neg_lo:[0,0,1] neg_hi:[0,0,1]
	v_pk_add_f16 v57, v59, v57
	v_pk_mul_f16 v59, v45, s52 op_sel_hi:[0,1]
	v_pk_fma_f16 v60, v44, s19, v59 op_sel_hi:[0,1,1] neg_lo:[0,0,1] neg_hi:[0,0,1]
	v_pk_add_f16 v57, v60, v57
	v_pk_mul_f16 v60, v47, s56 op_sel_hi:[0,1]
	;; [unrolled: 3-line block ×6, first 2 shown]
	v_pk_fma_f16 v65, v55, s40, v64 op_sel_hi:[0,1,1] neg_lo:[0,0,1] neg_hi:[0,0,1]
	v_pk_fma_f16 v56, v0, s7, v56 op_sel_hi:[0,1,1]
	v_pk_add_f16 v77, v57, v65
	v_pk_add_f16 v56, v56, v9 op_sel_hi:[1,0]
	v_pk_fma_f16 v57, v7, s15, v58 op_sel_hi:[0,1,1]
	v_pk_add_f16 v56, v57, v56
	v_pk_fma_f16 v57, v44, s19, v59 op_sel_hi:[0,1,1]
	v_pk_add_f16 v56, v57, v56
	;; [unrolled: 2-line block ×7, first 2 shown]
	v_pk_mul_f16 v56, v6, s45 op_sel_hi:[0,1]
	v_pk_fma_f16 v57, v0, s8, v56 op_sel_hi:[0,1,1] neg_lo:[0,0,1] neg_hi:[0,0,1]
	v_pk_mul_f16 v58, v10, s49 op_sel_hi:[0,1]
	v_pk_add_f16 v57, v57, v9 op_sel_hi:[1,0]
	v_pk_fma_f16 v59, v7, s16, v58 op_sel_hi:[0,1,1] neg_lo:[0,0,1] neg_hi:[0,0,1]
	v_pk_add_f16 v57, v59, v57
	v_pk_mul_f16 v59, v45, s53 op_sel_hi:[0,1]
	v_pk_fma_f16 v60, v44, s20, v59 op_sel_hi:[0,1,1] neg_lo:[0,0,1] neg_hi:[0,0,1]
	v_pk_add_f16 v57, v60, v57
	v_pk_mul_f16 v60, v47, s57 op_sel_hi:[0,1]
	;; [unrolled: 3-line block ×6, first 2 shown]
	v_pk_fma_f16 v65, v55, s41, v64 op_sel_hi:[0,1,1] neg_lo:[0,0,1] neg_hi:[0,0,1]
	v_pk_fma_f16 v56, v0, s8, v56 op_sel_hi:[0,1,1]
	v_pk_add_f16 v78, v57, v65
	v_pk_add_f16 v56, v56, v9 op_sel_hi:[1,0]
	v_pk_fma_f16 v57, v7, s16, v58 op_sel_hi:[0,1,1]
	v_pk_add_f16 v56, v57, v56
	v_pk_fma_f16 v57, v44, s20, v59 op_sel_hi:[0,1,1]
	v_pk_add_f16 v56, v57, v56
	;; [unrolled: 2-line block ×6, first 2 shown]
	v_pk_fma_f16 v57, v55, s41, v64 op_sel_hi:[0,1,1]
	v_pk_mul_f16 v6, v6, s46 op_sel_hi:[0,1]
	v_pk_add_f16 v83, v56, v57
	v_pk_fma_f16 v56, v0, s9, v6 op_sel_hi:[0,1,1] neg_lo:[0,0,1] neg_hi:[0,0,1]
	v_pk_mul_f16 v10, v10, s50 op_sel_hi:[0,1]
	v_pk_fma_f16 v0, v0, s9, v6 op_sel_hi:[0,1,1]
	v_pk_mul_f16 v45, v45, s54 op_sel_hi:[0,1]
	v_pk_add_f16 v0, v0, v9 op_sel_hi:[1,0]
	v_pk_fma_f16 v6, v7, s17, v10 op_sel_hi:[0,1,1]
	v_pk_mul_f16 v47, v47, s58 op_sel_hi:[0,1]
	v_pk_add_f16 v0, v6, v0
	v_pk_fma_f16 v6, v44, s21, v45 op_sel_hi:[0,1,1]
	v_pk_add_f16 v56, v56, v9 op_sel_hi:[1,0]
	v_pk_fma_f16 v57, v7, s17, v10 op_sel_hi:[0,1,1] neg_lo:[0,0,1] neg_hi:[0,0,1]
	v_pk_mul_f16 v48, v48, s62 op_sel_hi:[0,1]
	v_pk_add_f16 v0, v6, v0
	v_pk_fma_f16 v6, v46, s25, v47 op_sel_hi:[0,1,1]
	v_pk_add_f16 v56, v57, v56
	v_pk_fma_f16 v57, v44, s21, v45 op_sel_hi:[0,1,1] neg_lo:[0,0,1] neg_hi:[0,0,1]
	v_pk_mul_f16 v49, v49, s66 op_sel_hi:[0,1]
	v_pk_add_f16 v0, v6, v0
	v_pk_fma_f16 v6, v54, s29, v48 op_sel_hi:[0,1,1]
	v_pk_add_f16 v56, v57, v56
	;; [unrolled: 5-line block ×4, first 2 shown]
	v_pk_fma_f16 v57, v53, s34, v49 op_sel_hi:[0,1,1] neg_lo:[0,0,1] neg_hi:[0,0,1]
	v_pk_add_f16 v0, v0, v6
	v_pk_fma_f16 v6, v55, s42, v51 op_sel_hi:[0,1,1]
	v_pk_add_f16 v56, v57, v56
	v_pk_fma_f16 v57, v52, s38, v50 op_sel_hi:[0,1,1] neg_lo:[0,0,1] neg_hi:[0,0,1]
	v_pk_add_f16 v9, v0, v6
	v_lshlrev_b32_e32 v0, 5, v11
	v_pk_add_f16 v56, v56, v57
	v_pk_fma_f16 v57, v55, s42, v51 op_sel_hi:[0,1,1] neg_lo:[0,0,1] neg_hi:[0,0,1]
	v_sub_u32_e32 v0, v8, v0
	v_pk_add_f16 v79, v56, v57
	s_waitcnt lgkmcnt(0)
	; wave barrier
	s_waitcnt lgkmcnt(0)
	ds_read_u16 v68, v0 offset:2346
	ds_read_u16 v70, v0 offset:1224
	;; [unrolled: 1-line block ×5, first 2 shown]
	ds_read_u16 v53, v0
	ds_read_u16 v52, v0 offset:102
	ds_read_u16 v51, v0 offset:204
	;; [unrolled: 1-line block ×27, first 2 shown]
	v_add_u32_e32 v7, 51, v11
	s_waitcnt lgkmcnt(0)
	; wave barrier
	s_waitcnt lgkmcnt(0)
	ds_write_b16 v8, v80
	ds_write_b128 v8, v[76:79] offset:2
	v_alignbit_b32 v76, v9, v9, 16
	v_alignbit_b32 v77, v83, v83, 16
	;; [unrolled: 1-line block ×4, first 2 shown]
	ds_write_b128 v8, v[76:79] offset:18
	s_and_saveexec_b64 s[4:5], vcc
	s_cbranch_execz .LBB0_19
; %bb.18:
	v_add_f16_e32 v8, v5, v37
	v_add_f16_e32 v8, v8, v36
	;; [unrolled: 1-line block ×3, first 2 shown]
	v_sub_f16_e32 v10, v12, v28
	s_mov_b32 s7, 0xb964b5c8
	v_add_f16_e32 v8, v8, v33
	v_add_f16_e32 v9, v37, v43
	v_sub_f16_e32 v26, v13, v26
	v_pk_mul_f16 v13, v10, s7 op_sel_hi:[0,1]
	s_mov_b32 s8, 0xbbf7b964
	v_add_f16_e32 v8, v8, v32
	v_add_f16_e32 v28, v36, v42
	v_sub_f16_e32 v25, v14, v25
	v_pk_fma_f16 v12, v9, s6, v13 op_sel_hi:[0,1,1] neg_lo:[0,0,1] neg_hi:[0,0,1]
	s_mov_b32 s7, 0x2de839e9
	v_pk_mul_f16 v14, v26, s8 op_sel_hi:[0,1]
	v_add_f16_e32 v8, v8, v31
	v_sub_f16_e32 v19, v19, v20
	v_pk_add_f16 v12, v5, v12 op_sel_hi:[0,1]
	v_pk_fma_f16 v20, v28, s7, v14 op_sel_hi:[0,1,1] neg_lo:[0,0,1] neg_hi:[0,0,1]
	s_mov_b32 s9, 0xba62bb29
	v_add_f16_e32 v8, v8, v29
	v_add_f16_e32 v35, v35, v41
	v_pk_add_f16 v12, v12, v20
	s_mov_b32 s8, 0xb8d23722
	v_pk_mul_f16 v20, v25, s9 op_sel_hi:[0,1]
	v_add_f16_e32 v8, v8, v27
	v_sub_f16_e32 v15, v15, v24
	v_sub_f16_e32 v18, v18, v21
	v_add_f16_e32 v21, v27, v30
	v_pk_fma_f16 v27, v35, s8, v20 op_sel_hi:[0,1,1] neg_lo:[0,0,1] neg_hi:[0,0,1]
	s_mov_b32 s14, 0xb1e1bbf7
	v_add_f16_e32 v33, v33, v40
	v_pk_add_f16 v12, v12, v27
	s_mov_b32 s9, 0xbbdd2de8
	v_pk_mul_f16 v27, v15, s14 op_sel_hi:[0,1]
	v_sub_f16_e32 v16, v16, v23
	v_sub_f16_e32 v17, v17, v22
	v_add_f16_e32 v22, v29, v34
	v_pk_fma_f16 v29, v33, s9, v27 op_sel_hi:[0,1,1] neg_lo:[0,0,1] neg_hi:[0,0,1]
	s_mov_b32 s15, 0x3836bbb2
	v_add_f16_e32 v24, v32, v39
	v_pk_add_f16 v12, v12, v29
	s_mov_b32 s14, 0xbacdb461
	v_pk_mul_f16 v29, v16, s15 op_sel_hi:[0,1]
	v_pk_fma_f16 v13, v9, s6, v13 op_sel_hi:[0,1,1]
	v_add_f16_e32 v8, v8, v30
	v_pk_fma_f16 v30, v24, s14, v29 op_sel_hi:[0,1,1] neg_lo:[0,0,1] neg_hi:[0,0,1]
	s_mov_b32 s16, 0x3bb2ba62
	v_pk_add_f16 v13, v5, v13 op_sel_hi:[0,1]
	v_pk_fma_f16 v14, v28, s7, v14 op_sel_hi:[0,1,1]
	v_add_f16_e32 v23, v31, v38
	v_pk_add_f16 v12, v12, v30
	s_mov_b32 s15, 0xb461b8d2
	v_pk_mul_f16 v30, v17, s16 op_sel_hi:[0,1]
	v_pk_add_f16 v13, v13, v14
	v_pk_fma_f16 v14, v35, s8, v20 op_sel_hi:[0,1,1]
	v_pk_fma_f16 v31, v23, s15, v30 op_sel_hi:[0,1,1] neg_lo:[0,0,1] neg_hi:[0,0,1]
	s_mov_b32 s17, 0x3b29b836
	v_pk_add_f16 v13, v13, v14
	v_pk_fma_f16 v14, v33, s9, v27 op_sel_hi:[0,1,1]
	v_pk_add_f16 v12, v12, v31
	s_mov_b32 s16, 0x3722bacd
	v_pk_mul_f16 v31, v18, s17 op_sel_hi:[0,1]
	v_pk_add_f16 v13, v13, v14
	v_pk_fma_f16 v14, v24, s14, v29 op_sel_hi:[0,1,1]
	v_pk_fma_f16 v32, v22, s16, v31 op_sel_hi:[0,1,1] neg_lo:[0,0,1] neg_hi:[0,0,1]
	s_mov_b32 s18, 0x35c8b1e1
	v_pk_add_f16 v13, v13, v14
	v_pk_fma_f16 v14, v23, s15, v30 op_sel_hi:[0,1,1]
	v_pk_add_f16 v12, v32, v12
	s_mov_b32 s17, 0x3b76bbdd
	v_pk_mul_f16 v32, v19, s18 op_sel_hi:[0,1]
	v_pk_add_f16 v13, v13, v14
	v_pk_fma_f16 v14, v22, s16, v31 op_sel_hi:[0,1,1]
	v_pk_add_f16 v13, v14, v13
	v_pk_fma_f16 v14, v21, s17, v32 op_sel_hi:[0,1,1]
	s_mov_b32 s7, 0xbbf7bb29
	v_pk_add_f16 v20, v14, v13
	s_mov_b32 s6, 0x2de83722
	v_pk_mul_f16 v14, v10, s7 op_sel_hi:[0,1]
	s_mov_b32 s8, 0xb1e1ba62
	v_pk_fma_f16 v13, v9, s6, v14 op_sel_hi:[0,1,1] neg_lo:[0,0,1] neg_hi:[0,0,1]
	s_mov_b32 s7, 0xbbddb8d2
	v_pk_mul_f16 v27, v26, s8 op_sel_hi:[0,1]
	v_pk_add_f16 v13, v5, v13 op_sel_hi:[0,1]
	v_pk_fma_f16 v29, v28, s7, v27 op_sel_hi:[0,1,1] neg_lo:[0,0,1] neg_hi:[0,0,1]
	s_mov_b32 s9, 0x3bb231e1
	v_pk_add_f16 v13, v13, v29
	s_mov_b32 s8, 0xb461bbdd
	v_pk_mul_f16 v29, v25, s9 op_sel_hi:[0,1]
	v_pk_fma_f16 v30, v35, s8, v29 op_sel_hi:[0,1,1] neg_lo:[0,0,1] neg_hi:[0,0,1]
	s_mov_b32 s14, 0x35c83bb2
	v_pk_add_f16 v13, v13, v30
	s_mov_b32 s9, 0x3b76b461
	v_pk_mul_f16 v30, v15, s14 op_sel_hi:[0,1]
	;; [unrolled: 5-line block ×3, first 2 shown]
	v_pk_fma_f16 v14, v9, s6, v14 op_sel_hi:[0,1,1]
	v_add_f16_e32 v8, v8, v34
	v_pk_fma_f16 v34, v21, s17, v32 op_sel_hi:[0,1,1] neg_lo:[0,0,1] neg_hi:[0,0,1]
	v_pk_fma_f16 v32, v24, s14, v31 op_sel_hi:[0,1,1] neg_lo:[0,0,1] neg_hi:[0,0,1]
	s_mov_b32 s16, 0xb836b5c8
	v_pk_add_f16 v14, v5, v14 op_sel_hi:[0,1]
	v_pk_fma_f16 v27, v28, s7, v27 op_sel_hi:[0,1,1]
	v_pk_add_f16 v13, v13, v32
	s_mov_b32 s15, 0xbacd3b76
	v_pk_mul_f16 v32, v17, s16 op_sel_hi:[0,1]
	v_pk_add_f16 v14, v14, v27
	v_pk_fma_f16 v27, v35, s8, v29 op_sel_hi:[0,1,1]
	v_pk_add_f16 v12, v34, v12
	v_pk_fma_f16 v34, v23, s15, v32 op_sel_hi:[0,1,1] neg_lo:[0,0,1] neg_hi:[0,0,1]
	s_mov_b32 s17, 0x3a62bbf7
	v_pk_add_f16 v14, v14, v27
	v_pk_fma_f16 v27, v33, s9, v30 op_sel_hi:[0,1,1]
	v_pk_add_f16 v13, v13, v34
	s_mov_b32 s16, 0xb8d22de8
	v_pk_mul_f16 v34, v18, s17 op_sel_hi:[0,1]
	v_pk_add_f16 v14, v14, v27
	v_pk_fma_f16 v27, v24, s14, v31 op_sel_hi:[0,1,1]
	v_pk_fma_f16 v36, v22, s16, v34 op_sel_hi:[0,1,1] neg_lo:[0,0,1] neg_hi:[0,0,1]
	s_mov_b32 s18, 0x3964b836
	v_pk_add_f16 v14, v14, v27
	v_pk_fma_f16 v27, v23, s15, v32 op_sel_hi:[0,1,1]
	v_pk_add_f16 v13, v36, v13
	s_mov_b32 s17, 0x39e9bacd
	v_pk_mul_f16 v36, v19, s18 op_sel_hi:[0,1]
	v_pk_add_f16 v14, v14, v27
	v_pk_fma_f16 v27, v22, s16, v34 op_sel_hi:[0,1,1]
	s_mov_b32 s7, 0xba62bbb2
	v_pk_add_f16 v14, v27, v14
	v_pk_fma_f16 v27, v21, s17, v36 op_sel_hi:[0,1,1]
	s_mov_b32 s6, 0xb8d2b461
	v_pk_mul_f16 v29, v10, s7 op_sel_hi:[0,1]
	s_mov_b32 s8, 0x3bb23836
	v_pk_add_f16 v27, v27, v14
	v_pk_fma_f16 v14, v9, s6, v29 op_sel_hi:[0,1,1] neg_lo:[0,0,1] neg_hi:[0,0,1]
	s_mov_b32 s7, 0xb461bacd
	v_pk_mul_f16 v30, v26, s8 op_sel_hi:[0,1]
	v_pk_add_f16 v14, v5, v14 op_sel_hi:[0,1]
	v_pk_fma_f16 v31, v28, s7, v30 op_sel_hi:[0,1,1] neg_lo:[0,0,1] neg_hi:[0,0,1]
	s_mov_b32 s9, 0xb5c83964
	v_pk_add_f16 v14, v14, v31
	s_mov_b32 s8, 0x3b7639e9
	v_pk_mul_f16 v31, v25, s9 op_sel_hi:[0,1]
	v_pk_fma_f16 v32, v35, s8, v31 op_sel_hi:[0,1,1] neg_lo:[0,0,1] neg_hi:[0,0,1]
	s_mov_b32 s14, 0xb836bb29
	v_pk_add_f16 v14, v14, v32
	s_mov_b32 s9, 0xbacd3722
	v_pk_mul_f16 v32, v15, s14 op_sel_hi:[0,1]
	;; [unrolled: 5-line block ×3, first 2 shown]
	v_pk_fma_f16 v29, v9, s6, v29 op_sel_hi:[0,1,1]
	v_pk_fma_f16 v37, v21, s17, v36 op_sel_hi:[0,1,1] neg_lo:[0,0,1] neg_hi:[0,0,1]
	v_pk_fma_f16 v36, v24, s14, v34 op_sel_hi:[0,1,1] neg_lo:[0,0,1] neg_hi:[0,0,1]
	s_mov_b32 s16, 0xb9643bf7
	v_pk_add_f16 v29, v5, v29 op_sel_hi:[0,1]
	v_pk_fma_f16 v30, v28, s7, v30 op_sel_hi:[0,1,1]
	v_pk_add_f16 v14, v14, v36
	s_mov_b32 s15, 0x39e92de8
	v_pk_mul_f16 v36, v17, s16 op_sel_hi:[0,1]
	v_pk_add_f16 v29, v29, v30
	v_pk_fma_f16 v30, v35, s8, v31 op_sel_hi:[0,1,1]
	v_pk_add_f16 v13, v37, v13
	v_pk_fma_f16 v37, v23, s15, v36 op_sel_hi:[0,1,1] neg_lo:[0,0,1] neg_hi:[0,0,1]
	s_mov_b32 s17, 0xb1e1b5c8
	v_pk_add_f16 v29, v29, v30
	v_pk_fma_f16 v30, v33, s9, v32 op_sel_hi:[0,1,1]
	v_pk_add_f16 v14, v14, v37
	s_mov_b32 s16, 0xbbdd3b76
	v_pk_mul_f16 v37, v18, s17 op_sel_hi:[0,1]
	v_pk_add_f16 v29, v29, v30
	v_pk_fma_f16 v30, v24, s14, v34 op_sel_hi:[0,1,1]
	v_add_f16_e32 v8, v8, v38
	v_pk_fma_f16 v38, v22, s16, v37 op_sel_hi:[0,1,1] neg_lo:[0,0,1] neg_hi:[0,0,1]
	s_mov_b32 s18, 0x3b29ba62
	v_pk_add_f16 v29, v29, v30
	v_pk_fma_f16 v30, v23, s15, v36 op_sel_hi:[0,1,1]
	v_pk_add_f16 v14, v38, v14
	s_mov_b32 s17, 0x3722b8d2
	v_pk_mul_f16 v38, v19, s18 op_sel_hi:[0,1]
	v_pk_add_f16 v29, v29, v30
	v_pk_fma_f16 v30, v22, s16, v37 op_sel_hi:[0,1,1]
	s_mov_b32 s7, 0xb1e1b836
	v_pk_add_f16 v29, v30, v29
	v_pk_fma_f16 v30, v21, s17, v38 op_sel_hi:[0,1,1]
	s_mov_b32 s6, 0xbbddbacd
	v_pk_mul_f16 v10, v10, s7 op_sel_hi:[0,1]
	s_mov_b32 s8, 0x35c83b29
	v_pk_add_f16 v29, v30, v29
	v_pk_fma_f16 v30, v9, s6, v10 op_sel_hi:[0,1,1] neg_lo:[0,0,1] neg_hi:[0,0,1]
	s_mov_b32 s7, 0x3b763722
	v_pk_mul_f16 v26, v26, s8 op_sel_hi:[0,1]
	s_mov_b32 s9, 0xb836bbf7
	v_pk_add_f16 v30, v5, v30 op_sel_hi:[0,1]
	v_pk_fma_f16 v31, v28, s7, v26 op_sel_hi:[0,1,1] neg_lo:[0,0,1] neg_hi:[0,0,1]
	s_mov_b32 s8, 0xbacd2de8
	v_pk_mul_f16 v25, v25, s9 op_sel_hi:[0,1]
	v_pk_fma_f16 v9, v9, s6, v10 op_sel_hi:[0,1,1]
	v_pk_add_f16 v30, v30, v31
	v_pk_fma_f16 v31, v35, s8, v25 op_sel_hi:[0,1,1] neg_lo:[0,0,1] neg_hi:[0,0,1]
	s_mov_b32 s14, 0x39643a62
	v_pk_add_f16 v5, v5, v9 op_sel_hi:[0,1]
	v_pk_fma_f16 v9, v28, s7, v26 op_sel_hi:[0,1,1]
	v_pk_add_f16 v30, v30, v31
	s_mov_b32 s9, 0x39e9b8d2
	v_pk_mul_f16 v31, v15, s14 op_sel_hi:[0,1]
	s_mov_b32 s15, 0xba62b5c8
	v_pk_add_f16 v5, v5, v9
	v_pk_fma_f16 v9, v35, s8, v25 op_sel_hi:[0,1,1]
	v_pk_fma_f16 v15, v33, s9, v31 op_sel_hi:[0,1,1] neg_lo:[0,0,1] neg_hi:[0,0,1]
	s_mov_b32 s14, 0xb8d23b76
	v_pk_mul_f16 v16, v16, s15 op_sel_hi:[0,1]
	s_mov_b32 s16, 0x3b29b1e1
	v_pk_add_f16 v5, v5, v9
	v_pk_fma_f16 v9, v33, s9, v31 op_sel_hi:[0,1,1]
	v_add_f16_e32 v8, v39, v8
	v_pk_fma_f16 v39, v21, s17, v38 op_sel_hi:[0,1,1] neg_lo:[0,0,1] neg_hi:[0,0,1]
	v_pk_add_f16 v15, v30, v15
	v_pk_fma_f16 v30, v24, s14, v16 op_sel_hi:[0,1,1] neg_lo:[0,0,1] neg_hi:[0,0,1]
	s_mov_b32 s15, 0x3722bbdd
	v_pk_mul_f16 v17, v17, s16 op_sel_hi:[0,1]
	s_mov_b32 s17, 0xbbb23964
	v_pk_add_f16 v5, v5, v9
	v_pk_fma_f16 v9, v24, s14, v16 op_sel_hi:[0,1,1]
	v_add_f16_e32 v8, v40, v8
	v_pk_add_f16 v15, v15, v30
	v_pk_fma_f16 v30, v23, s15, v17 op_sel_hi:[0,1,1] neg_lo:[0,0,1] neg_hi:[0,0,1]
	s_mov_b32 s16, 0xb46139e9
	v_pk_mul_f16 v18, v18, s17 op_sel_hi:[0,1]
	s_mov_b32 s18, 0x3bf7bbb2
	v_pk_add_f16 v5, v5, v9
	v_pk_fma_f16 v9, v23, s15, v17 op_sel_hi:[0,1,1]
	v_add_f16_e32 v8, v41, v8
	v_pk_add_f16 v15, v15, v30
	v_pk_fma_f16 v30, v22, s16, v18 op_sel_hi:[0,1,1] neg_lo:[0,0,1] neg_hi:[0,0,1]
	s_mov_b32 s17, 0x2de8b461
	v_pk_mul_f16 v19, v19, s18 op_sel_hi:[0,1]
	v_pk_add_f16 v5, v5, v9
	v_pk_fma_f16 v9, v22, s16, v18 op_sel_hi:[0,1,1]
	v_add_f16_e32 v8, v42, v8
	v_pk_add_f16 v15, v30, v15
	v_pk_fma_f16 v30, v21, s17, v19 op_sel_hi:[0,1,1] neg_lo:[0,0,1] neg_hi:[0,0,1]
	v_pk_add_f16 v5, v9, v5
	v_pk_fma_f16 v9, v21, s17, v19 op_sel_hi:[0,1,1]
	v_add_f16_e32 v8, v43, v8
	v_pk_add_f16 v14, v39, v14
	v_pk_add_f16 v15, v30, v15
	;; [unrolled: 1-line block ×3, first 2 shown]
	v_mad_u32_u24 v9, v7, 34, 0
	ds_write_b16 v9, v8
	ds_write_b128 v9, v[12:15] offset:2
	v_alignbit_b32 v12, v5, v5, 16
	v_alignbit_b32 v13, v29, v29, 16
	;; [unrolled: 1-line block ×4, first 2 shown]
	ds_write_b128 v9, v[12:15] offset:18
.LBB0_19:
	s_or_b64 exec, exec, s[4:5]
	s_movk_i32 s4, 0xf1
	v_mul_lo_u16_sdwa v5, v11, s4 dst_sel:DWORD dst_unused:UNUSED_PAD src0_sel:BYTE_0 src1_sel:DWORD
	v_lshrrev_b16_e32 v37, 12, v5
	v_mul_lo_u16_e32 v5, 17, v37
	v_sub_u16_e32 v31, v11, v5
	v_mov_b32_e32 v25, 3
	v_lshlrev_b32_sdwa v5, v25, v31 dst_sel:DWORD dst_unused:UNUSED_PAD src0_sel:DWORD src1_sel:BYTE_0
	s_waitcnt lgkmcnt(0)
	; wave barrier
	s_waitcnt lgkmcnt(0)
	global_load_dwordx2 v[17:18], v5, s[12:13]
	v_mul_lo_u16_sdwa v19, v7, s4 dst_sel:DWORD dst_unused:UNUSED_PAD src0_sel:BYTE_0 src1_sel:DWORD
	v_lshrrev_b16_e32 v81, 12, v19
	v_mul_lo_u16_e32 v19, 17, v81
	v_sub_u16_e32 v35, v7, v19
	v_lshlrev_b32_sdwa v19, v25, v35 dst_sel:DWORD dst_unused:UNUSED_PAD src0_sel:DWORD src1_sel:BYTE_0
	ds_read_u16 v38, v0 offset:1326
	ds_read_u16 v39, v0 offset:1428
	;; [unrolled: 1-line block ×3, first 2 shown]
	ds_read_u16 v41, v0
	ds_read_u16 v42, v0 offset:102
	ds_read_u16 v43, v0 offset:204
	;; [unrolled: 1-line block ×7, first 2 shown]
	global_load_dwordx2 v[19:20], v19, s[12:13]
	v_add_u32_e32 v8, 0x66, v11
	v_mul_lo_u16_sdwa v21, v8, s4 dst_sel:DWORD dst_unused:UNUSED_PAD src0_sel:BYTE_0 src1_sel:DWORD
	v_lshrrev_b16_e32 v89, 12, v21
	v_add_u32_e32 v9, 0x99, v11
	v_mul_lo_u16_e32 v21, 17, v89
	v_sub_u16_e32 v90, v8, v21
	v_mul_lo_u16_sdwa v21, v9, s4 dst_sel:DWORD dst_unused:UNUSED_PAD src0_sel:BYTE_0 src1_sel:DWORD
	v_lshrrev_b16_e32 v91, 12, v21
	v_mul_lo_u16_e32 v21, 17, v91
	v_add_u32_e32 v10, 0xcc, v11
	v_lshlrev_b32_sdwa v26, v25, v90 dst_sel:DWORD dst_unused:UNUSED_PAD src0_sel:DWORD src1_sel:BYTE_0
	v_sub_u16_e32 v92, v9, v21
	v_add_u32_e32 v12, 0xff, v11
	ds_read_u16 v82, v0 offset:816
	ds_read_u16 v83, v0 offset:918
	;; [unrolled: 1-line block ×7, first 2 shown]
	v_lshlrev_b32_sdwa v27, v25, v92 dst_sel:DWORD dst_unused:UNUSED_PAD src0_sel:DWORD src1_sel:BYTE_0
	global_load_dwordx2 v[21:22], v26, s[12:13]
	global_load_dwordx2 v[23:24], v27, s[12:13]
	v_mul_lo_u16_sdwa v26, v10, s4 dst_sel:DWORD dst_unused:UNUSED_PAD src0_sel:BYTE_0 src1_sel:DWORD
	s_mov_b32 s4, 0xf0f1
	v_lshrrev_b16_e32 v101, 12, v26
	v_mul_u32_u24_sdwa v27, v12, s4 dst_sel:DWORD dst_unused:UNUSED_PAD src0_sel:WORD_0 src1_sel:DWORD
	ds_read_u16 v93, v0 offset:2448
	ds_read_u16 v94, v0 offset:2550
	;; [unrolled: 1-line block ×8, first 2 shown]
	v_mul_lo_u16_e32 v26, 17, v101
	ds_read_u16 v103, v0 offset:1224
	ds_read_u16 v33, v0 offset:1122
	;; [unrolled: 1-line block ×3, first 2 shown]
	v_lshrrev_b32_e32 v105, 20, v27
	v_sub_u16_e32 v102, v10, v26
	v_mul_lo_u16_e32 v27, 17, v105
	v_add_u32_e32 v13, 0x132, v11
	v_lshlrev_b32_sdwa v25, v25, v102 dst_sel:DWORD dst_unused:UNUSED_PAD src0_sel:DWORD src1_sel:BYTE_0
	v_sub_u16_e32 v106, v12, v27
	global_load_dwordx2 v[25:26], v25, s[12:13]
	v_lshlrev_b32_e32 v27, 3, v106
	global_load_dwordx2 v[27:28], v27, s[12:13]
	v_mov_b32_e32 v110, 1
	v_mul_u32_u24_sdwa v29, v13, s4 dst_sel:DWORD dst_unused:UNUSED_PAD src0_sel:WORD_0 src1_sel:DWORD
	v_add_u32_e32 v14, 0x165, v11
	ds_read_u16 v107, v0 offset:2346
	ds_read_u16 v36, v0 offset:2244
	;; [unrolled: 1-line block ×4, first 2 shown]
	v_lshrrev_b32_e32 v111, 20, v29
	v_lshlrev_b32_sdwa v113, v110, v31 dst_sel:DWORD dst_unused:UNUSED_PAD src0_sel:DWORD src1_sel:BYTE_0
	v_mul_lo_u16_e32 v29, 17, v111
	v_add_u32_e32 v15, 0x198, v11
	v_sub_u16_e32 v112, v13, v29
	v_lshlrev_b32_e32 v29, 3, v112
	v_add_u32_e32 v16, 0x1cb, v11
	global_load_dwordx2 v[29:30], v29, s[12:13]
	v_add_u32_e32 v5, 0x1fe, v11
	v_lshlrev_b32_sdwa v122, v110, v35 dst_sel:DWORD dst_unused:UNUSED_PAD src0_sel:DWORD src1_sel:BYTE_0
	s_movk_i32 s5, 0x3aee
	s_movk_i32 s6, 0xa1
	;; [unrolled: 1-line block ×4, first 2 shown]
	s_mov_b32 s14, 0xb08e
	s_mov_b32 s20, 0xb93d
	;; [unrolled: 1-line block ×4, first 2 shown]
	s_movk_i32 s17, 0x3853
	s_mov_b32 s7, 0xbb47
	s_movk_i32 s9, 0x3b47
	s_movk_i32 s18, 0x3beb
	s_mov_b32 s19, 0xba0c
	s_movk_i32 s21, 0x3a0c
	s_mov_b32 s22, 0xb482
	s_movk_i32 s24, 0x3482
	s_waitcnt vmcnt(6) lgkmcnt(5)
	v_mul_f16_sdwa v31, v33, v17 dst_sel:DWORD dst_unused:UNUSED_PAD src0_sel:DWORD src1_sel:WORD_1
	v_fma_f16 v114, v75, v17, v31
	v_mul_u32_u24_sdwa v31, v14, s4 dst_sel:DWORD dst_unused:UNUSED_PAD src0_sel:WORD_0 src1_sel:DWORD
	v_lshrrev_b32_e32 v115, 20, v31
	v_mul_f16_sdwa v34, v75, v17 dst_sel:DWORD dst_unused:UNUSED_PAD src0_sel:DWORD src1_sel:WORD_1
	v_mul_lo_u16_e32 v31, 17, v115
	v_fma_f16 v75, v33, v17, -v34
	s_waitcnt lgkmcnt(2)
	v_mul_f16_sdwa v17, v36, v18 dst_sel:DWORD dst_unused:UNUSED_PAD src0_sel:DWORD src1_sel:WORD_1
	v_mul_u32_u24_sdwa v33, v15, s4 dst_sel:DWORD dst_unused:UNUSED_PAD src0_sel:WORD_0 src1_sel:DWORD
	v_sub_u16_e32 v116, v14, v31
	v_lshrrev_b32_e32 v117, 20, v33
	v_fma_f16 v119, v74, v18, v17
	v_mul_f16_sdwa v17, v74, v18 dst_sel:DWORD dst_unused:UNUSED_PAD src0_sel:DWORD src1_sel:WORD_1
	v_lshlrev_b32_e32 v31, 3, v116
	global_load_dwordx2 v[31:32], v31, s[12:13]
	v_mul_lo_u16_e32 v33, 17, v117
	v_fma_f16 v74, v36, v18, -v17
	v_mul_u32_u24_sdwa v17, v16, s4 dst_sel:DWORD dst_unused:UNUSED_PAD src0_sel:WORD_0 src1_sel:DWORD
	v_sub_u16_e32 v118, v15, v33
	v_lshrrev_b32_e32 v120, 20, v17
	s_waitcnt vmcnt(6)
	v_mul_f16_sdwa v35, v103, v19 dst_sel:DWORD dst_unused:UNUSED_PAD src0_sel:DWORD src1_sel:WORD_1
	v_lshlrev_b32_e32 v33, 3, v118
	global_load_dwordx2 v[33:34], v33, s[12:13]
	v_mul_lo_u16_e32 v17, 17, v120
	v_fma_f16 v123, v70, v19, v35
	v_mul_u32_u24_sdwa v35, v5, s4 dst_sel:DWORD dst_unused:UNUSED_PAD src0_sel:WORD_0 src1_sel:DWORD
	v_sub_u16_e32 v121, v16, v17
	v_lshrrev_b32_e32 v124, 20, v35
	v_lshlrev_b32_e32 v17, 3, v121
	v_mul_lo_u16_e32 v35, 17, v124
	global_load_dwordx2 v[17:18], v17, s[12:13]
	v_sub_u16_e32 v125, v5, v35
	v_lshlrev_b32_e32 v35, 3, v125
	global_load_dwordx2 v[35:36], v35, s[12:13]
	v_mul_f16_sdwa v70, v70, v19 dst_sel:DWORD dst_unused:UNUSED_PAD src0_sel:DWORD src1_sel:WORD_1
	v_fma_f16 v19, v103, v19, -v70
	v_mul_f16_sdwa v70, v107, v20 dst_sel:DWORD dst_unused:UNUSED_PAD src0_sel:DWORD src1_sel:WORD_1
	v_fma_f16 v70, v68, v20, v70
	v_mul_f16_sdwa v68, v68, v20 dst_sel:DWORD dst_unused:UNUSED_PAD src0_sel:DWORD src1_sel:WORD_1
	v_fma_f16 v20, v107, v20, -v68
	v_lshlrev_b32_sdwa v68, v110, v90 dst_sel:DWORD dst_unused:UNUSED_PAD src0_sel:DWORD src1_sel:BYTE_0
	s_waitcnt vmcnt(8)
	v_mul_f16_sdwa v90, v38, v21 dst_sel:DWORD dst_unused:UNUSED_PAD src0_sel:DWORD src1_sel:WORD_1
	v_fma_f16 v90, v67, v21, v90
	v_mul_f16_sdwa v67, v67, v21 dst_sel:DWORD dst_unused:UNUSED_PAD src0_sel:DWORD src1_sel:WORD_1
	v_fma_f16 v21, v38, v21, -v67
	v_mul_f16_sdwa v38, v93, v22 dst_sel:DWORD dst_unused:UNUSED_PAD src0_sel:DWORD src1_sel:WORD_1
	v_fma_f16 v38, v73, v22, v38
	v_mul_f16_sdwa v67, v73, v22 dst_sel:DWORD dst_unused:UNUSED_PAD src0_sel:DWORD src1_sel:WORD_1
	s_waitcnt vmcnt(7)
	v_mul_f16_sdwa v73, v39, v23 dst_sel:DWORD dst_unused:UNUSED_PAD src0_sel:DWORD src1_sel:WORD_1
	v_fma_f16 v73, v64, v23, v73
	v_mul_f16_sdwa v64, v64, v23 dst_sel:DWORD dst_unused:UNUSED_PAD src0_sel:DWORD src1_sel:WORD_1
	v_fma_f16 v23, v39, v23, -v64
	v_mul_f16_sdwa v39, v94, v24 dst_sel:DWORD dst_unused:UNUSED_PAD src0_sel:DWORD src1_sel:WORD_1
	v_fma_f16 v39, v72, v24, v39
	v_mul_f16_sdwa v64, v72, v24 dst_sel:DWORD dst_unused:UNUSED_PAD src0_sel:DWORD src1_sel:WORD_1
	s_waitcnt vmcnt(6)
	v_mul_f16_sdwa v72, v40, v25 dst_sel:DWORD dst_unused:UNUSED_PAD src0_sel:DWORD src1_sel:WORD_1
	v_fma_f16 v72, v62, v25, v72
	v_mul_f16_sdwa v62, v62, v25 dst_sel:DWORD dst_unused:UNUSED_PAD src0_sel:DWORD src1_sel:WORD_1
	v_fma_f16 v25, v40, v25, -v62
	v_mul_f16_sdwa v40, v95, v26 dst_sel:DWORD dst_unused:UNUSED_PAD src0_sel:DWORD src1_sel:WORD_1
	v_fma_f16 v40, v71, v26, v40
	v_mul_f16_sdwa v62, v71, v26 dst_sel:DWORD dst_unused:UNUSED_PAD src0_sel:DWORD src1_sel:WORD_1
	s_waitcnt vmcnt(5)
	v_mul_f16_sdwa v71, v84, v27 dst_sel:DWORD dst_unused:UNUSED_PAD src0_sel:DWORD src1_sel:WORD_1
	v_fma_f16 v71, v66, v27, v71
	v_mul_f16_sdwa v66, v66, v27 dst_sel:DWORD dst_unused:UNUSED_PAD src0_sel:DWORD src1_sel:WORD_1
	v_fma_f16 v27, v84, v27, -v66
	s_waitcnt vmcnt(4)
	v_mul_f16_sdwa v84, v85, v29 dst_sel:DWORD dst_unused:UNUSED_PAD src0_sel:DWORD src1_sel:WORD_1
	v_fma_f16 v84, v63, v29, v84
	v_mul_f16_sdwa v63, v63, v29 dst_sel:DWORD dst_unused:UNUSED_PAD src0_sel:DWORD src1_sel:WORD_1
	v_fma_f16 v29, v85, v29, -v63
	v_fma_f16 v22, v93, v22, -v67
	v_lshlrev_b32_sdwa v67, v110, v92 dst_sel:DWORD dst_unused:UNUSED_PAD src0_sel:DWORD src1_sel:BYTE_0
	v_add_f16_e32 v92, v114, v119
	s_mov_b32 s4, 0xbaee
	v_fma_f16 v24, v94, v24, -v64
	v_add_f16_e32 v94, v123, v70
	v_fma_f16 v26, v95, v26, -v62
	v_mul_f16_sdwa v66, v96, v28 dst_sel:DWORD dst_unused:UNUSED_PAD src0_sel:DWORD src1_sel:WORD_1
	v_fma_f16 v66, v69, v28, v66
	v_mul_f16_sdwa v69, v69, v28 dst_sel:DWORD dst_unused:UNUSED_PAD src0_sel:DWORD src1_sel:WORD_1
	v_fma_f16 v28, v96, v28, -v69
	v_mul_f16_sdwa v63, v97, v30 dst_sel:DWORD dst_unused:UNUSED_PAD src0_sel:DWORD src1_sel:WORD_1
	v_fma_f16 v63, v65, v30, v63
	v_mul_f16_sdwa v65, v65, v30 dst_sel:DWORD dst_unused:UNUSED_PAD src0_sel:DWORD src1_sel:WORD_1
	v_fma_f16 v30, v97, v30, -v65
	s_waitcnt lgkmcnt(0)
	; wave barrier
	s_waitcnt lgkmcnt(0)
	v_lshlrev_b32_sdwa v64, v110, v102 dst_sel:DWORD dst_unused:UNUSED_PAD src0_sel:DWORD src1_sel:BYTE_0
	v_lshlrev_b32_e32 v62, 1, v106
	v_lshlrev_b32_e32 v69, 1, v112
	v_lshlrev_b32_e32 v65, 1, v116
	s_waitcnt vmcnt(3)
	v_mul_f16_sdwa v85, v86, v31 dst_sel:DWORD dst_unused:UNUSED_PAD src0_sel:DWORD src1_sel:WORD_1
	v_fma_f16 v85, v60, v31, v85
	v_mul_f16_sdwa v60, v60, v31 dst_sel:DWORD dst_unused:UNUSED_PAD src0_sel:DWORD src1_sel:WORD_1
	v_fma_f16 v31, v86, v31, -v60
	v_mul_f16_sdwa v60, v98, v32 dst_sel:DWORD dst_unused:UNUSED_PAD src0_sel:DWORD src1_sel:WORD_1
	v_fma_f16 v60, v61, v32, v60
	v_mul_f16_sdwa v61, v61, v32 dst_sel:DWORD dst_unused:UNUSED_PAD src0_sel:DWORD src1_sel:WORD_1
	v_fma_f16 v32, v98, v32, -v61
	s_waitcnt vmcnt(2)
	v_mul_f16_sdwa v86, v87, v33 dst_sel:DWORD dst_unused:UNUSED_PAD src0_sel:DWORD src1_sel:WORD_1
	v_fma_f16 v86, v58, v33, v86
	v_mul_f16_sdwa v58, v58, v33 dst_sel:DWORD dst_unused:UNUSED_PAD src0_sel:DWORD src1_sel:WORD_1
	v_fma_f16 v33, v87, v33, -v58
	v_mul_f16_sdwa v58, v99, v34 dst_sel:DWORD dst_unused:UNUSED_PAD src0_sel:DWORD src1_sel:WORD_1
	v_fma_f16 v58, v59, v34, v58
	v_mul_f16_sdwa v59, v59, v34 dst_sel:DWORD dst_unused:UNUSED_PAD src0_sel:DWORD src1_sel:WORD_1
	v_fma_f16 v34, v99, v34, -v59
	s_waitcnt vmcnt(1)
	v_mul_f16_sdwa v87, v88, v17 dst_sel:DWORD dst_unused:UNUSED_PAD src0_sel:DWORD src1_sel:WORD_1
	v_fma_f16 v87, v54, v17, v87
	v_mul_f16_sdwa v54, v54, v17 dst_sel:DWORD dst_unused:UNUSED_PAD src0_sel:DWORD src1_sel:WORD_1
	v_fma_f16 v17, v88, v17, -v54
	s_waitcnt vmcnt(0)
	v_mul_f16_sdwa v88, v108, v35 dst_sel:DWORD dst_unused:UNUSED_PAD src0_sel:DWORD src1_sel:WORD_1
	v_fma_f16 v88, v56, v35, v88
	v_mul_f16_sdwa v56, v56, v35 dst_sel:DWORD dst_unused:UNUSED_PAD src0_sel:DWORD src1_sel:WORD_1
	v_fma_f16 v35, v108, v35, -v56
	v_mul_f16_sdwa v56, v109, v36 dst_sel:DWORD dst_unused:UNUSED_PAD src0_sel:DWORD src1_sel:WORD_1
	v_fma_f16 v56, v55, v36, v56
	v_mul_f16_sdwa v55, v55, v36 dst_sel:DWORD dst_unused:UNUSED_PAD src0_sel:DWORD src1_sel:WORD_1
	v_fma_f16 v36, v109, v36, -v55
	v_add_f16_e32 v55, v53, v114
	v_fma_f16 v53, v92, -0.5, v53
	v_sub_f16_e32 v92, v75, v74
	v_fma_f16 v93, v92, s4, v53
	v_fma_f16 v53, v92, s5, v53
	v_add_f16_e32 v92, v41, v75
	v_add_f16_e32 v92, v92, v74
	;; [unrolled: 1-line block ×3, first 2 shown]
	v_fma_f16 v41, v74, -0.5, v41
	v_sub_f16_e32 v74, v114, v119
	v_fma_f16 v75, v74, s5, v41
	v_fma_f16 v41, v74, s4, v41
	v_add_f16_e32 v74, v52, v123
	v_fma_f16 v52, v94, -0.5, v52
	v_sub_f16_e32 v94, v19, v20
	v_fma_f16 v95, v94, s4, v52
	v_fma_f16 v52, v94, s5, v52
	v_add_f16_e32 v94, v42, v19
	v_add_f16_e32 v19, v19, v20
	;; [unrolled: 1-line block ×4, first 2 shown]
	v_fma_f16 v19, v19, -0.5, v42
	v_sub_f16_e32 v20, v123, v70
	v_add_f16_e32 v70, v90, v38
	v_fma_f16 v42, v20, s5, v19
	v_fma_f16 v19, v20, s4, v19
	v_add_f16_e32 v20, v51, v90
	v_fma_f16 v51, v70, -0.5, v51
	v_sub_f16_e32 v70, v21, v22
	v_fma_f16 v96, v70, s4, v51
	v_fma_f16 v51, v70, s5, v51
	v_add_f16_e32 v70, v43, v21
	v_add_f16_e32 v21, v21, v22
	v_add_f16_e32 v70, v70, v22
	v_fma_f16 v21, v21, -0.5, v43
	v_sub_f16_e32 v22, v90, v38
	v_add_f16_e32 v43, v73, v39
	v_add_f16_e32 v20, v20, v38
	v_fma_f16 v38, v22, s5, v21
	v_fma_f16 v21, v22, s4, v21
	v_add_f16_e32 v22, v50, v73
	v_fma_f16 v43, v43, -0.5, v50
	v_sub_f16_e32 v50, v23, v24
	v_fma_f16 v90, v50, s4, v43
	v_fma_f16 v43, v50, s5, v43
	v_add_f16_e32 v50, v76, v23
	v_add_f16_e32 v23, v23, v24
	v_add_f16_e32 v50, v50, v24
	v_fma_f16 v23, v23, -0.5, v76
	v_sub_f16_e32 v24, v73, v39
	v_add_f16_e32 v73, v72, v40
	;; [unrolled: 14-line block ×6, first 2 shown]
	v_mul_f16_sdwa v54, v100, v18 dst_sel:DWORD dst_unused:UNUSED_PAD src0_sel:DWORD src1_sel:WORD_1
	v_add_f16_e32 v29, v29, v60
	v_fma_f16 v60, v32, s5, v31
	v_fma_f16 v31, v32, s4, v31
	v_add_f16_e32 v32, v45, v86
	v_fma_f16 v45, v80, -0.5, v45
	v_sub_f16_e32 v80, v33, v34
	v_fma_f16 v54, v57, v18, v54
	v_mul_f16_sdwa v57, v57, v18 dst_sel:DWORD dst_unused:UNUSED_PAD src0_sel:DWORD src1_sel:WORD_1
	v_fma_f16 v85, v80, s4, v45
	v_fma_f16 v45, v80, s5, v45
	v_add_f16_e32 v80, v82, v33
	v_add_f16_e32 v33, v33, v34
	v_fma_f16 v18, v100, v18, -v57
	v_add_f16_e32 v80, v80, v34
	v_fma_f16 v33, v33, -0.5, v82
	v_sub_f16_e32 v34, v86, v58
	v_add_f16_e32 v82, v87, v54
	v_add_f16_e32 v32, v32, v58
	v_fma_f16 v58, v34, s5, v33
	v_fma_f16 v33, v34, s4, v33
	v_add_f16_e32 v34, v6, v87
	v_fma_f16 v6, v82, -0.5, v6
	v_sub_f16_e32 v82, v17, v18
	v_fma_f16 v86, v82, s4, v6
	v_fma_f16 v6, v82, s5, v6
	v_add_f16_e32 v82, v83, v17
	v_add_f16_e32 v17, v17, v18
	;; [unrolled: 1-line block ×3, first 2 shown]
	v_fma_f16 v17, v17, -0.5, v83
	v_sub_f16_e32 v18, v87, v54
	v_add_f16_e32 v83, v88, v56
	v_add_f16_e32 v34, v34, v54
	v_fma_f16 v54, v18, s5, v17
	v_fma_f16 v18, v18, s4, v17
	v_add_f16_e32 v17, v44, v88
	v_fma_f16 v44, v83, -0.5, v44
	v_sub_f16_e32 v83, v35, v36
	v_fma_f16 v87, v83, s4, v44
	v_fma_f16 v44, v83, s5, v44
	v_add_f16_e32 v83, v104, v35
	v_add_f16_e32 v35, v35, v36
	;; [unrolled: 1-line block ×3, first 2 shown]
	v_fma_f16 v35, v35, -0.5, v104
	v_sub_f16_e32 v36, v88, v56
	v_add_f16_e32 v17, v17, v56
	v_fma_f16 v56, v36, s5, v35
	v_fma_f16 v35, v36, s4, v35
	v_mul_u32_u24_e32 v36, 0x66, v37
	v_mul_u32_u24_e32 v37, 0x66, v81
	v_add_f16_e32 v55, v55, v119
	v_add3_u32 v36, 0, v36, v113
	v_add3_u32 v37, 0, v37, v122
	ds_write_b16 v36, v55
	ds_write_b16 v36, v93 offset:34
	ds_write_b16 v36, v53 offset:68
	ds_write_b16 v37, v74
	ds_write_b16 v37, v95 offset:34
	ds_write_b16 v37, v52 offset:68
	v_mul_u32_u24_e32 v52, 0x66, v89
	v_add3_u32 v52, 0, v52, v68
	ds_write_b16 v52, v20
	ds_write_b16 v52, v96 offset:34
	ds_write_b16 v52, v51 offset:68
	v_mul_u32_u24_e32 v20, 0x66, v91
	v_add3_u32 v20, 0, v20, v67
	;; [unrolled: 5-line block ×6, first 2 shown]
	v_lshlrev_b32_e32 v61, 1, v118
	ds_write_b16 v28, v29
	ds_write_b16 v28, v84 offset:34
	ds_write_b16 v28, v46 offset:68
	v_mul_u32_u24_e32 v29, 0x66, v117
	v_lshlrev_b32_e32 v59, 1, v121
	v_add3_u32 v43, 0, v29, v61
	v_mul_u32_u24_e32 v29, 0x66, v120
	ds_write_b16 v43, v32
	ds_write_b16 v43, v85 offset:34
	ds_write_b16 v43, v45 offset:68
	v_add3_u32 v32, 0, v29, v59
	v_lshlrev_b32_e32 v57, 1, v125
	ds_write_b16 v32, v34
	ds_write_b16 v32, v86 offset:34
	ds_write_b16 v32, v6 offset:68
	v_mul_u32_u24_e32 v6, 0x66, v124
	v_add3_u32 v6, 0, v6, v57
	ds_write_b16 v6, v17
	ds_write_b16 v6, v87 offset:34
	ds_write_b16 v6, v44 offset:68
	s_waitcnt lgkmcnt(0)
	; wave barrier
	s_waitcnt lgkmcnt(0)
	ds_read_u16 v44, v0
	ds_read_u16 v29, v0 offset:102
	ds_read_u16 v45, v0 offset:1632
	;; [unrolled: 1-line block ×32, first 2 shown]
	s_waitcnt lgkmcnt(0)
	; wave barrier
	s_waitcnt lgkmcnt(0)
	ds_write_b16 v36, v92
	ds_write_b16 v36, v75 offset:34
	ds_write_b16 v36, v41 offset:68
	ds_write_b16 v37, v94
	ds_write_b16 v37, v42 offset:34
	ds_write_b16 v37, v19 offset:68
	;; [unrolled: 3-line block ×11, first 2 shown]
	v_mul_u32_u24_e32 v6, 10, v11
	v_lshlrev_b32_e32 v6, 2, v6
	s_waitcnt lgkmcnt(0)
	; wave barrier
	s_waitcnt lgkmcnt(0)
	global_load_dwordx4 v[20:23], v6, s[12:13] offset:136
	global_load_dwordx4 v[24:27], v6, s[12:13] offset:152
	global_load_dwordx2 v[38:39], v6, s[12:13] offset:168
	ds_read_u16 v43, v0
	ds_read_u16 v53, v0 offset:102
	ds_read_u16 v18, v0 offset:1632
	;; [unrolled: 1-line block ×32, first 2 shown]
	s_waitcnt vmcnt(2) lgkmcnt(14)
	v_mul_f16_sdwa v6, v36, v20 dst_sel:DWORD dst_unused:UNUSED_PAD src0_sel:DWORD src1_sel:WORD_1
	v_fma_f16 v97, v55, v20, v6
	v_mul_lo_u16_sdwa v6, v8, s6 dst_sel:DWORD dst_unused:UNUSED_PAD src0_sel:BYTE_0 src1_sel:DWORD
	v_lshrrev_b16_e32 v6, 13, v6
	v_mul_lo_u16_e32 v6, 51, v6
	v_sub_u16_e32 v6, v8, v6
	v_and_b32_e32 v6, 0xff, v6
	v_mul_u32_u24_e32 v30, 10, v6
	v_lshlrev_b32_e32 v98, 2, v30
	v_mul_f16_sdwa v55, v55, v20 dst_sel:DWORD dst_unused:UNUSED_PAD src0_sel:DWORD src1_sel:WORD_1
	global_load_dwordx4 v[30:33], v98, s[12:13] offset:136
	v_fma_f16 v55, v36, v20, -v55
	v_mul_f16_sdwa v36, v35, v21 dst_sel:DWORD dst_unused:UNUSED_PAD src0_sel:DWORD src1_sel:WORD_1
	v_fma_f16 v99, v34, v21, v36
	v_mul_f16_sdwa v34, v34, v21 dst_sel:DWORD dst_unused:UNUSED_PAD src0_sel:DWORD src1_sel:WORD_1
	v_fma_f16 v100, v35, v21, -v34
	v_mul_f16_sdwa v34, v42, v22 dst_sel:DWORD dst_unused:UNUSED_PAD src0_sel:DWORD src1_sel:WORD_1
	v_fma_f16 v101, v65, v22, v34
	v_mul_f16_sdwa v34, v65, v22 dst_sel:DWORD dst_unused:UNUSED_PAD src0_sel:DWORD src1_sel:WORD_1
	v_fma_f16 v102, v42, v22, -v34
	v_mul_f16_sdwa v34, v37, v23 dst_sel:DWORD dst_unused:UNUSED_PAD src0_sel:DWORD src1_sel:WORD_1
	v_fma_f16 v103, v62, v23, v34
	v_mul_f16_sdwa v34, v62, v23 dst_sel:DWORD dst_unused:UNUSED_PAD src0_sel:DWORD src1_sel:WORD_1
	v_fma_f16 v62, v37, v23, -v34
	s_waitcnt vmcnt(2)
	v_mul_f16_sdwa v34, v41, v24 dst_sel:DWORD dst_unused:UNUSED_PAD src0_sel:DWORD src1_sel:WORD_1
	v_fma_f16 v104, v57, v24, v34
	global_load_dwordx4 v[34:37], v98, s[12:13] offset:152
	v_mul_f16_sdwa v42, v57, v24 dst_sel:DWORD dst_unused:UNUSED_PAD src0_sel:DWORD src1_sel:WORD_1
	v_fma_f16 v105, v41, v24, -v42
	s_waitcnt lgkmcnt(8)
	v_mul_f16_sdwa v41, v79, v25 dst_sel:DWORD dst_unused:UNUSED_PAD src0_sel:DWORD src1_sel:WORD_1
	v_fma_f16 v106, v81, v25, v41
	v_mul_f16_sdwa v41, v81, v25 dst_sel:DWORD dst_unused:UNUSED_PAD src0_sel:DWORD src1_sel:WORD_1
	v_fma_f16 v79, v79, v25, -v41
	v_mul_f16_sdwa v41, v70, v26 dst_sel:DWORD dst_unused:UNUSED_PAD src0_sel:DWORD src1_sel:WORD_1
	v_fma_f16 v81, v69, v26, v41
	v_mul_f16_sdwa v41, v69, v26 dst_sel:DWORD dst_unused:UNUSED_PAD src0_sel:DWORD src1_sel:WORD_1
	v_fma_f16 v107, v70, v26, -v41
	;; [unrolled: 4-line block ×3, first 2 shown]
	global_load_dwordx2 v[41:42], v98, s[12:13] offset:168
	s_waitcnt vmcnt(3) lgkmcnt(2)
	v_mul_f16_sdwa v28, v94, v38 dst_sel:DWORD dst_unused:UNUSED_PAD src0_sel:DWORD src1_sel:WORD_1
	v_fma_f16 v98, v89, v38, v28
	v_mul_f16_sdwa v28, v89, v38 dst_sel:DWORD dst_unused:UNUSED_PAD src0_sel:DWORD src1_sel:WORD_1
	v_fma_f16 v89, v94, v38, -v28
	v_mul_f16_sdwa v28, v83, v39 dst_sel:DWORD dst_unused:UNUSED_PAD src0_sel:DWORD src1_sel:WORD_1
	v_fma_f16 v94, v86, v39, v28
	v_mul_f16_sdwa v28, v86, v39 dst_sel:DWORD dst_unused:UNUSED_PAD src0_sel:DWORD src1_sel:WORD_1
	v_fma_f16 v83, v83, v39, -v28
	v_mul_f16_sdwa v28, v54, v20 dst_sel:DWORD dst_unused:UNUSED_PAD src0_sel:DWORD src1_sel:WORD_1
	v_fma_f16 v86, v49, v20, v28
	v_mul_f16_sdwa v28, v49, v20 dst_sel:DWORD dst_unused:UNUSED_PAD src0_sel:DWORD src1_sel:WORD_1
	v_fma_f16 v110, v54, v20, -v28
	v_mul_f16_sdwa v20, v50, v21 dst_sel:DWORD dst_unused:UNUSED_PAD src0_sel:DWORD src1_sel:WORD_1
	v_fma_f16 v111, v48, v21, v20
	v_mul_f16_sdwa v20, v48, v21 dst_sel:DWORD dst_unused:UNUSED_PAD src0_sel:DWORD src1_sel:WORD_1
	v_fma_f16 v112, v50, v21, -v20
	v_mul_f16_sdwa v20, v60, v22 dst_sel:DWORD dst_unused:UNUSED_PAD src0_sel:DWORD src1_sel:WORD_1
	v_fma_f16 v113, v64, v22, v20
	v_mul_f16_sdwa v20, v64, v22 dst_sel:DWORD dst_unused:UNUSED_PAD src0_sel:DWORD src1_sel:WORD_1
	v_fma_f16 v114, v60, v22, -v20
	v_mul_f16_sdwa v20, v58, v23 dst_sel:DWORD dst_unused:UNUSED_PAD src0_sel:DWORD src1_sel:WORD_1
	v_fma_f16 v69, v61, v23, v20
	v_mul_f16_sdwa v20, v61, v23 dst_sel:DWORD dst_unused:UNUSED_PAD src0_sel:DWORD src1_sel:WORD_1
	v_fma_f16 v70, v58, v23, -v20
	v_mul_f16_sdwa v20, v18, v24 dst_sel:DWORD dst_unused:UNUSED_PAD src0_sel:DWORD src1_sel:WORD_1
	v_fma_f16 v60, v45, v24, v20
	v_mul_f16_sdwa v20, v45, v24 dst_sel:DWORD dst_unused:UNUSED_PAD src0_sel:DWORD src1_sel:WORD_1
	v_fma_f16 v61, v18, v24, -v20
	v_mul_f16_sdwa v18, v71, v25 dst_sel:DWORD dst_unused:UNUSED_PAD src0_sel:DWORD src1_sel:WORD_1
	v_fma_f16 v64, v78, v25, v18
	v_mul_f16_sdwa v18, v78, v25 dst_sel:DWORD dst_unused:UNUSED_PAD src0_sel:DWORD src1_sel:WORD_1
	v_fma_f16 v65, v71, v25, -v18
	v_mul_f16_sdwa v18, v72, v26 dst_sel:DWORD dst_unused:UNUSED_PAD src0_sel:DWORD src1_sel:WORD_1
	v_fma_f16 v71, v76, v26, v18
	v_mul_f16_sdwa v18, v76, v26 dst_sel:DWORD dst_unused:UNUSED_PAD src0_sel:DWORD src1_sel:WORD_1
	v_fma_f16 v72, v72, v26, -v18
	v_mul_f16_sdwa v18, v40, v27 dst_sel:DWORD dst_unused:UNUSED_PAD src0_sel:DWORD src1_sel:WORD_1
	v_fma_f16 v76, v47, v27, v18
	v_mul_f16_sdwa v18, v47, v27 dst_sel:DWORD dst_unused:UNUSED_PAD src0_sel:DWORD src1_sel:WORD_1
	v_fma_f16 v78, v40, v27, -v18
	v_mul_f16_sdwa v18, v93, v38 dst_sel:DWORD dst_unused:UNUSED_PAD src0_sel:DWORD src1_sel:WORD_1
	v_fma_f16 v115, v88, v38, v18
	v_mul_f16_sdwa v18, v88, v38 dst_sel:DWORD dst_unused:UNUSED_PAD src0_sel:DWORD src1_sel:WORD_1
	v_fma_f16 v88, v93, v38, -v18
	v_mul_f16_sdwa v18, v82, v39 dst_sel:DWORD dst_unused:UNUSED_PAD src0_sel:DWORD src1_sel:WORD_1
	v_fma_f16 v93, v85, v39, v18
	v_mul_f16_sdwa v18, v85, v39 dst_sel:DWORD dst_unused:UNUSED_PAD src0_sel:DWORD src1_sel:WORD_1
	v_fma_f16 v82, v82, v39, -v18
	s_waitcnt vmcnt(2)
	v_mul_f16_sdwa v18, v52, v30 dst_sel:DWORD dst_unused:UNUSED_PAD src0_sel:DWORD src1_sel:WORD_1
	v_fma_f16 v49, v51, v30, v18
	v_mul_f16_sdwa v18, v51, v30 dst_sel:DWORD dst_unused:UNUSED_PAD src0_sel:DWORD src1_sel:WORD_1
	v_fma_f16 v50, v52, v30, -v18
	v_mul_f16_sdwa v18, v66, v31 dst_sel:DWORD dst_unused:UNUSED_PAD src0_sel:DWORD src1_sel:WORD_1
	v_fma_f16 v38, v68, v31, v18
	v_mul_f16_sdwa v18, v68, v31 dst_sel:DWORD dst_unused:UNUSED_PAD src0_sel:DWORD src1_sel:WORD_1
	v_fma_f16 v40, v66, v31, -v18
	;; [unrolled: 4-line block ×4, first 2 shown]
	s_waitcnt vmcnt(1)
	v_mul_f16_sdwa v18, v80, v34 dst_sel:DWORD dst_unused:UNUSED_PAD src0_sel:DWORD src1_sel:WORD_1
	v_fma_f16 v21, v84, v34, v18
	v_mul_f16_sdwa v18, v84, v34 dst_sel:DWORD dst_unused:UNUSED_PAD src0_sel:DWORD src1_sel:WORD_1
	v_fma_f16 v22, v80, v34, -v18
	v_mul_f16_sdwa v18, v75, v35 dst_sel:DWORD dst_unused:UNUSED_PAD src0_sel:DWORD src1_sel:WORD_1
	v_fma_f16 v23, v77, v35, v18
	v_mul_f16_sdwa v18, v77, v35 dst_sel:DWORD dst_unused:UNUSED_PAD src0_sel:DWORD src1_sel:WORD_1
	v_fma_f16 v24, v75, v35, -v18
	;; [unrolled: 4-line block ×3, first 2 shown]
	s_waitcnt lgkmcnt(1)
	v_mul_f16_sdwa v18, v95, v37 dst_sel:DWORD dst_unused:UNUSED_PAD src0_sel:DWORD src1_sel:WORD_1
	v_fma_f16 v32, v90, v37, v18
	v_mul_f16_sdwa v18, v90, v37 dst_sel:DWORD dst_unused:UNUSED_PAD src0_sel:DWORD src1_sel:WORD_1
	v_fma_f16 v33, v95, v37, -v18
	s_waitcnt vmcnt(0)
	v_mul_f16_sdwa v18, v92, v41 dst_sel:DWORD dst_unused:UNUSED_PAD src0_sel:DWORD src1_sel:WORD_1
	v_fma_f16 v46, v87, v41, v18
	v_mul_f16_sdwa v18, v87, v41 dst_sel:DWORD dst_unused:UNUSED_PAD src0_sel:DWORD src1_sel:WORD_1
	v_fma_f16 v47, v92, v41, -v18
	s_waitcnt lgkmcnt(0)
	v_mul_f16_sdwa v18, v96, v42 dst_sel:DWORD dst_unused:UNUSED_PAD src0_sel:DWORD src1_sel:WORD_1
	v_fma_f16 v56, v91, v42, v18
	v_mul_f16_sdwa v18, v91, v42 dst_sel:DWORD dst_unused:UNUSED_PAD src0_sel:DWORD src1_sel:WORD_1
	v_fma_f16 v57, v96, v42, -v18
	v_add_f16_e32 v18, v44, v97
	v_add_f16_e32 v20, v43, v55
	;; [unrolled: 1-line block ×18, first 2 shown]
	v_sub_f16_e32 v37, v55, v83
	v_add_f16_e32 v20, v18, v94
	v_add_f16_e32 v18, v34, v83
	v_add_f16_e32 v34, v97, v94
	v_add_f16_e32 v35, v55, v83
	v_mul_f16_e32 v39, 0xb853, v37
	v_mul_f16_e32 v48, 0xbb47, v37
	;; [unrolled: 1-line block ×5, first 2 shown]
	v_fma_f16 v41, v34, s16, v39
	v_fma_f16 v39, v34, s16, -v39
	v_fma_f16 v51, v34, s8, v48
	v_fma_f16 v48, v34, s8, -v48
	v_fma_f16 v58, v34, s14, v55
	v_fma_f16 v55, v34, s14, -v55
	v_fma_f16 v67, v34, s20, v66
	v_fma_f16 v66, v34, s20, -v66
	v_fma_f16 v74, v34, s23, v37
	v_fma_f16 v34, v34, s23, -v37
	v_sub_f16_e32 v36, v97, v94
	v_add_f16_e32 v41, v44, v41
	v_mul_f16_e32 v42, 0x3abb, v35
	v_add_f16_e32 v39, v44, v39
	v_add_f16_e32 v51, v44, v51
	v_mul_f16_e32 v52, 0x36a6, v35
	v_add_f16_e32 v48, v44, v48
	s_mov_b32 s6, 0xbbeb
	v_add_f16_e32 v58, v44, v58
	v_mul_f16_e32 v59, 0xb08e, v35
	v_add_f16_e32 v55, v44, v55
	v_add_f16_e32 v67, v44, v67
	v_mul_f16_e32 v68, 0xb93d, v35
	v_add_f16_e32 v66, v44, v66
	;; [unrolled: 3-line block ×3, first 2 shown]
	v_sub_f16_e32 v44, v100, v89
	v_fma_f16 v45, v36, s17, v42
	v_fma_f16 v42, v36, s15, v42
	;; [unrolled: 1-line block ×10, first 2 shown]
	v_add_f16_e32 v36, v99, v98
	v_mul_f16_e32 v77, 0xbb47, v44
	v_add_f16_e32 v37, v100, v89
	v_fma_f16 v80, v36, s8, v77
	v_add_f16_e32 v45, v43, v45
	v_add_f16_e32 v42, v43, v42
	;; [unrolled: 1-line block ×10, first 2 shown]
	v_sub_f16_e32 v43, v99, v98
	v_add_f16_e32 v41, v80, v41
	v_mul_f16_e32 v80, 0x36a6, v37
	v_fma_f16 v77, v36, s8, -v77
	v_add_f16_e32 v39, v77, v39
	v_fma_f16 v77, v43, s7, v80
	v_add_f16_e32 v42, v77, v42
	v_mul_f16_e32 v77, 0xba0c, v44
	v_fma_f16 v83, v43, s9, v80
	v_fma_f16 v80, v36, s20, v77
	v_add_f16_e32 v51, v80, v51
	v_mul_f16_e32 v80, 0xb93d, v37
	v_fma_f16 v77, v36, s20, -v77
	v_add_f16_e32 v48, v77, v48
	v_fma_f16 v77, v43, s19, v80
	v_add_f16_e32 v52, v77, v52
	v_mul_f16_e32 v77, 0x3482, v44
	v_add_f16_e32 v45, v83, v45
	v_fma_f16 v83, v43, s21, v80
	v_fma_f16 v80, v36, s23, v77
	v_add_f16_e32 v58, v80, v58
	v_mul_f16_e32 v80, 0xbbad, v37
	v_fma_f16 v77, v36, s23, -v77
	v_add_f16_e32 v55, v77, v55
	v_fma_f16 v77, v43, s24, v80
	v_add_f16_e32 v59, v77, v59
	v_mul_f16_e32 v77, 0x3beb, v44
	v_add_f16_e32 v54, v83, v54
	v_fma_f16 v83, v43, s22, v80
	v_fma_f16 v80, v36, s14, v77
	v_add_f16_e32 v67, v80, v67
	v_mul_f16_e32 v80, 0xb08e, v37
	v_fma_f16 v77, v36, s14, -v77
	v_add_f16_e32 v66, v77, v66
	v_fma_f16 v77, v43, s18, v80
	v_mul_f16_e32 v44, 0x3853, v44
	v_add_f16_e32 v68, v77, v68
	v_fma_f16 v77, v36, s16, v44
	v_mul_f16_e32 v37, 0x3abb, v37
	v_fma_f16 v36, v36, s16, -v44
	v_add_f16_e32 v74, v77, v74
	v_fma_f16 v77, v43, s15, v37
	v_add_f16_e32 v34, v36, v34
	v_fma_f16 v36, v43, s17, v37
	v_sub_f16_e32 v44, v102, v109
	v_add_f16_e32 v75, v77, v75
	v_add_f16_e32 v35, v36, v35
	;; [unrolled: 1-line block ×3, first 2 shown]
	v_mul_f16_e32 v77, 0xbbeb, v44
	v_add_f16_e32 v63, v83, v63
	v_fma_f16 v83, v43, s6, v80
	v_add_f16_e32 v37, v102, v109
	v_fma_f16 v80, v36, s14, v77
	v_sub_f16_e32 v43, v101, v108
	v_add_f16_e32 v41, v80, v41
	v_mul_f16_e32 v80, 0xb08e, v37
	v_fma_f16 v77, v36, s14, -v77
	v_add_f16_e32 v39, v77, v39
	v_fma_f16 v77, v43, s6, v80
	v_add_f16_e32 v42, v77, v42
	v_mul_f16_e32 v77, 0x3482, v44
	v_add_f16_e32 v73, v83, v73
	v_fma_f16 v83, v43, s18, v80
	v_fma_f16 v80, v36, s23, v77
	v_add_f16_e32 v51, v80, v51
	v_mul_f16_e32 v80, 0xbbad, v37
	v_fma_f16 v77, v36, s23, -v77
	v_add_f16_e32 v48, v77, v48
	v_fma_f16 v77, v43, s24, v80
	v_add_f16_e32 v52, v77, v52
	v_mul_f16_e32 v77, 0x3b47, v44
	v_add_f16_e32 v45, v83, v45
	v_fma_f16 v83, v43, s22, v80
	v_fma_f16 v80, v36, s8, v77
	;; [unrolled: 10-line block ×3, first 2 shown]
	v_add_f16_e32 v67, v80, v67
	v_mul_f16_e32 v80, 0x3abb, v37
	v_fma_f16 v77, v36, s16, -v77
	v_add_f16_e32 v66, v77, v66
	v_fma_f16 v77, v43, s15, v80
	v_mul_f16_e32 v44, 0xba0c, v44
	v_add_f16_e32 v68, v77, v68
	v_fma_f16 v77, v36, s20, v44
	v_mul_f16_e32 v37, 0xb93d, v37
	v_fma_f16 v36, v36, s20, -v44
	v_add_f16_e32 v34, v36, v34
	v_fma_f16 v36, v43, s19, v37
	v_sub_f16_e32 v44, v62, v107
	v_add_f16_e32 v74, v77, v74
	v_fma_f16 v77, v43, s21, v37
	v_add_f16_e32 v35, v36, v35
	v_add_f16_e32 v36, v103, v81
	;; [unrolled: 1-line block ×3, first 2 shown]
	v_mul_f16_e32 v62, 0xba0c, v44
	v_add_f16_e32 v75, v77, v75
	v_fma_f16 v77, v36, s20, v62
	v_add_f16_e32 v63, v83, v63
	v_fma_f16 v83, v43, s17, v80
	v_sub_f16_e32 v43, v103, v81
	v_add_f16_e32 v41, v77, v41
	v_mul_f16_e32 v77, 0xb93d, v37
	v_fma_f16 v62, v36, s20, -v62
	v_add_f16_e32 v39, v62, v39
	v_fma_f16 v62, v43, s19, v77
	v_add_f16_e32 v42, v62, v42
	v_mul_f16_e32 v62, 0x3beb, v44
	v_fma_f16 v80, v43, s21, v77
	v_fma_f16 v77, v36, s14, v62
	v_add_f16_e32 v77, v77, v51
	v_mul_f16_e32 v51, 0xb08e, v37
	v_add_f16_e32 v45, v80, v45
	v_fma_f16 v80, v43, s6, v51
	v_fma_f16 v62, v36, s14, -v62
	v_fma_f16 v51, v43, s18, v51
	v_add_f16_e32 v48, v62, v48
	v_add_f16_e32 v62, v51, v52
	v_mul_f16_e32 v51, 0xb853, v44
	v_fma_f16 v52, v36, s16, v51
	v_add_f16_e32 v58, v52, v58
	v_mul_f16_e32 v52, 0x3abb, v37
	v_add_f16_e32 v54, v80, v54
	v_fma_f16 v80, v43, s17, v52
	v_fma_f16 v51, v36, s16, -v51
	v_add_f16_e32 v63, v80, v63
	v_add_f16_e32 v80, v51, v55
	v_fma_f16 v51, v43, s15, v52
	v_add_f16_e32 v81, v51, v59
	v_mul_f16_e32 v51, 0xb482, v44
	v_fma_f16 v52, v36, s23, v51
	v_add_f16_e32 v67, v52, v67
	v_mul_f16_e32 v52, 0xbbad, v37
	v_fma_f16 v51, v36, s23, -v51
	v_add_f16_e32 v66, v51, v66
	v_fma_f16 v51, v43, s22, v52
	v_mul_f16_e32 v44, 0x3b47, v44
	v_add_f16_e32 v68, v51, v68
	v_fma_f16 v51, v36, s8, v44
	v_mul_f16_e32 v37, 0x36a6, v37
	v_fma_f16 v36, v36, s8, -v44
	v_add_f16_e32 v73, v83, v73
	v_add_f16_e32 v83, v36, v34
	v_fma_f16 v34, v43, s9, v37
	v_add_f16_e32 v44, v105, v79
	v_sub_f16_e32 v79, v105, v79
	v_add_f16_e32 v84, v34, v35
	v_add_f16_e32 v85, v104, v106
	v_mul_f16_e32 v34, 0xb482, v79
	v_add_f16_e32 v74, v51, v74
	v_fma_f16 v51, v43, s7, v37
	v_sub_f16_e32 v87, v104, v106
	v_fma_f16 v35, v85, s23, v34
	v_mul_f16_e32 v36, 0xbbad, v44
	v_fma_f16 v34, v85, s23, -v34
	v_fma_f16 v55, v43, s24, v52
	v_add_f16_e32 v75, v51, v75
	v_add_f16_e32 v52, v35, v41
	v_fma_f16 v35, v87, s24, v36
	v_add_f16_e32 v51, v34, v39
	v_fma_f16 v34, v87, s22, v36
	v_mul_f16_e32 v36, 0x3853, v79
	v_fma_f16 v37, v85, s16, v36
	v_mul_f16_e32 v39, 0x3abb, v44
	v_add_f16_e32 v73, v55, v73
	v_add_f16_e32 v55, v37, v77
	v_fma_f16 v37, v87, s15, v39
	v_fma_f16 v36, v85, s16, -v36
	v_add_f16_e32 v37, v37, v54
	v_add_f16_e32 v54, v36, v48
	v_fma_f16 v36, v87, s17, v39
	v_mul_f16_e32 v39, 0xba0c, v79
	v_add_f16_e32 v34, v34, v42
	v_fma_f16 v41, v85, s20, v39
	v_mul_f16_e32 v42, 0xb93d, v44
	v_fma_f16 v39, v85, s20, -v39
	v_mul_f16_e32 v43, 0x3b47, v79
	v_add_f16_e32 v35, v35, v45
	v_add_f16_e32 v58, v41, v58
	v_fma_f16 v41, v87, s21, v42
	v_add_f16_e32 v59, v39, v80
	v_fma_f16 v39, v87, s19, v42
	v_fma_f16 v42, v85, s8, v43
	v_mul_f16_e32 v45, 0x36a6, v44
	v_fma_f16 v43, v85, s8, -v43
	v_add_f16_e32 v36, v36, v62
	v_add_f16_e32 v41, v41, v63
	v_add_f16_e32 v62, v42, v67
	v_fma_f16 v42, v87, s7, v45
	v_add_f16_e32 v63, v43, v66
	v_fma_f16 v43, v87, s9, v45
	v_mul_f16_e32 v45, 0xbbeb, v79
	v_fma_f16 v48, v85, s14, v45
	v_add_f16_e32 v66, v48, v74
	v_mul_f16_e32 v48, 0xb08e, v44
	v_fma_f16 v45, v85, s14, -v45
	v_add_f16_e32 v43, v43, v68
	v_fma_f16 v44, v87, s18, v48
	v_add_f16_e32 v67, v45, v83
	v_fma_f16 v45, v87, s6, v48
	v_add_f16_e32 v48, v29, v86
	v_add_f16_e32 v68, v53, v110
	;; [unrolled: 1-line block ×19, first 2 shown]
	v_sub_f16_e32 v77, v110, v82
	v_add_f16_e32 v68, v48, v93
	v_add_f16_e32 v48, v73, v82
	;; [unrolled: 1-line block ×4, first 2 shown]
	v_mul_f16_e32 v79, 0xb853, v77
	v_mul_f16_e32 v83, 0xbb47, v77
	;; [unrolled: 1-line block ×5, first 2 shown]
	v_add_f16_e32 v39, v39, v81
	v_add_f16_e32 v44, v44, v75
	v_add_f16_e32 v45, v45, v84
	v_sub_f16_e32 v75, v86, v93
	v_fma_f16 v80, v73, s16, v79
	v_mul_f16_e32 v81, 0x3abb, v74
	v_fma_f16 v79, v73, s16, -v79
	v_fma_f16 v84, v73, s8, v83
	v_mul_f16_e32 v85, 0x36a6, v74
	v_fma_f16 v83, v73, s8, -v83
	;; [unrolled: 3-line block ×5, first 2 shown]
	v_add_f16_e32 v80, v29, v80
	v_fma_f16 v82, v75, s17, v81
	v_add_f16_e32 v79, v29, v79
	v_fma_f16 v81, v75, s15, v81
	;; [unrolled: 2-line block ×10, first 2 shown]
	v_sub_f16_e32 v77, v112, v88
	v_add_f16_e32 v82, v53, v82
	v_add_f16_e32 v81, v53, v81
	;; [unrolled: 1-line block ×12, first 2 shown]
	v_mul_f16_e32 v88, 0xbb47, v77
	v_fma_f16 v98, v73, s8, v88
	v_sub_f16_e32 v75, v111, v115
	v_add_f16_e32 v80, v98, v80
	v_mul_f16_e32 v98, 0x36a6, v74
	v_fma_f16 v88, v73, s8, -v88
	v_add_f16_e32 v79, v88, v79
	v_fma_f16 v88, v75, s7, v98
	v_add_f16_e32 v81, v88, v81
	v_mul_f16_e32 v88, 0xba0c, v77
	v_fma_f16 v99, v75, s9, v98
	v_fma_f16 v98, v73, s20, v88
	v_add_f16_e32 v84, v98, v84
	v_mul_f16_e32 v98, 0xb93d, v74
	v_fma_f16 v88, v73, s20, -v88
	v_add_f16_e32 v83, v88, v83
	v_fma_f16 v88, v75, s19, v98
	v_add_f16_e32 v85, v88, v85
	v_mul_f16_e32 v88, 0x3482, v77
	v_add_f16_e32 v82, v99, v82
	v_fma_f16 v99, v75, s21, v98
	v_fma_f16 v98, v73, s23, v88
	v_add_f16_e32 v89, v98, v89
	v_mul_f16_e32 v98, 0xbbad, v74
	v_fma_f16 v88, v73, s23, -v88
	v_add_f16_e32 v87, v88, v87
	v_fma_f16 v88, v75, s24, v98
	v_add_f16_e32 v88, v88, v90
	v_mul_f16_e32 v90, 0x3beb, v77
	v_add_f16_e32 v86, v99, v86
	v_fma_f16 v99, v75, s22, v98
	v_fma_f16 v98, v73, s14, v90
	v_add_f16_e32 v93, v98, v93
	v_mul_f16_e32 v98, 0xb08e, v74
	v_fma_f16 v90, v73, s14, -v90
	v_add_f16_e32 v90, v90, v92
	v_fma_f16 v92, v75, s18, v98
	v_mul_f16_e32 v77, 0x3853, v77
	v_add_f16_e32 v92, v92, v94
	v_fma_f16 v94, v73, s16, v77
	v_mul_f16_e32 v74, 0x3abb, v74
	v_fma_f16 v73, v73, s16, -v77
	v_add_f16_e32 v29, v73, v29
	v_fma_f16 v73, v75, s17, v74
	v_add_f16_e32 v91, v99, v91
	v_fma_f16 v99, v75, s6, v98
	;; [unrolled: 2-line block ×3, first 2 shown]
	v_add_f16_e32 v53, v73, v53
	v_add_f16_e32 v73, v113, v76
	v_sub_f16_e32 v75, v113, v76
	v_sub_f16_e32 v76, v114, v78
	v_mul_f16_e32 v77, 0xbbeb, v76
	v_add_f16_e32 v74, v114, v78
	v_fma_f16 v78, v73, s14, v77
	v_add_f16_e32 v78, v78, v80
	v_mul_f16_e32 v80, 0xb08e, v74
	v_fma_f16 v77, v73, s14, -v77
	v_add_f16_e32 v96, v96, v97
	v_fma_f16 v97, v75, s18, v80
	v_add_f16_e32 v77, v77, v79
	v_fma_f16 v79, v75, s6, v80
	v_mul_f16_e32 v80, 0x3482, v76
	v_add_f16_e32 v79, v79, v81
	v_fma_f16 v81, v73, s23, v80
	v_add_f16_e32 v81, v81, v84
	v_mul_f16_e32 v84, 0xbbad, v74
	v_fma_f16 v80, v73, s23, -v80
	v_add_f16_e32 v82, v97, v82
	v_fma_f16 v97, v75, s22, v84
	v_add_f16_e32 v80, v80, v83
	v_fma_f16 v83, v75, s24, v84
	v_mul_f16_e32 v84, 0x3b47, v76
	v_add_f16_e32 v83, v83, v85
	v_fma_f16 v85, v73, s8, v84
	v_add_f16_e32 v85, v85, v89
	v_mul_f16_e32 v89, 0x36a6, v74
	v_fma_f16 v84, v73, s8, -v84
	v_add_f16_e32 v84, v84, v87
	v_fma_f16 v87, v75, s9, v89
	v_add_f16_e32 v87, v87, v88
	v_mul_f16_e32 v88, 0xb853, v76
	v_add_f16_e32 v86, v97, v86
	v_fma_f16 v97, v75, s7, v89
	v_fma_f16 v89, v73, s16, v88
	v_add_f16_e32 v89, v89, v93
	v_mul_f16_e32 v93, 0x3abb, v74
	v_fma_f16 v88, v73, s16, -v88
	v_add_f16_e32 v88, v88, v90
	v_fma_f16 v90, v75, s15, v93
	v_mul_f16_e32 v76, 0xba0c, v76
	v_add_f16_e32 v90, v90, v92
	v_fma_f16 v92, v73, s20, v76
	v_mul_f16_e32 v74, 0xb93d, v74
	v_fma_f16 v73, v73, s20, -v76
	v_add_f16_e32 v91, v97, v91
	v_fma_f16 v97, v75, s17, v93
	v_fma_f16 v93, v75, s21, v74
	v_add_f16_e32 v29, v73, v29
	v_fma_f16 v73, v75, s19, v74
	v_add_f16_e32 v74, v70, v72
	v_sub_f16_e32 v70, v70, v72
	v_add_f16_e32 v53, v73, v53
	v_add_f16_e32 v73, v69, v71
	v_sub_f16_e32 v69, v69, v71
	v_mul_f16_e32 v71, 0xba0c, v70
	v_fma_f16 v72, v73, s20, v71
	v_mul_f16_e32 v75, 0xb93d, v74
	v_fma_f16 v71, v73, s20, -v71
	v_fma_f16 v76, v69, s21, v75
	v_add_f16_e32 v71, v71, v77
	v_fma_f16 v75, v69, s19, v75
	v_mul_f16_e32 v77, 0x3beb, v70
	v_add_f16_e32 v72, v72, v78
	v_add_f16_e32 v75, v75, v79
	v_fma_f16 v78, v73, s14, v77
	v_mul_f16_e32 v79, 0xb08e, v74
	v_fma_f16 v77, v73, s14, -v77
	v_add_f16_e32 v78, v78, v81
	v_fma_f16 v81, v69, s6, v79
	v_add_f16_e32 v77, v77, v80
	v_fma_f16 v79, v69, s18, v79
	v_mul_f16_e32 v80, 0xb853, v70
	v_add_f16_e32 v76, v76, v82
	v_add_f16_e32 v79, v79, v83
	v_fma_f16 v82, v73, s16, v80
	v_mul_f16_e32 v83, 0x3abb, v74
	v_fma_f16 v80, v73, s16, -v80
	v_add_f16_e32 v82, v82, v85
	v_fma_f16 v85, v69, s17, v83
	v_add_f16_e32 v80, v80, v84
	v_fma_f16 v83, v69, s15, v83
	v_mul_f16_e32 v84, 0xb482, v70
	v_add_f16_e32 v81, v81, v86
	v_add_f16_e32 v83, v83, v87
	v_fma_f16 v86, v73, s23, v84
	v_mul_f16_e32 v87, 0xbbad, v74
	v_fma_f16 v84, v73, s23, -v84
	v_mul_f16_e32 v70, 0x3b47, v70
	v_add_f16_e32 v86, v86, v89
	v_fma_f16 v89, v69, s24, v87
	v_add_f16_e32 v84, v84, v88
	v_fma_f16 v87, v69, s22, v87
	v_fma_f16 v88, v73, s8, v70
	v_mul_f16_e32 v74, 0x36a6, v74
	v_fma_f16 v70, v73, s8, -v70
	v_add_f16_e32 v87, v87, v90
	v_fma_f16 v90, v69, s7, v74
	v_add_f16_e32 v29, v70, v29
	v_fma_f16 v69, v69, s9, v74
	v_add_f16_e32 v70, v61, v65
	v_sub_f16_e32 v61, v61, v65
	v_add_f16_e32 v53, v69, v53
	v_add_f16_e32 v69, v60, v64
	v_sub_f16_e32 v60, v60, v64
	v_mul_f16_e32 v64, 0xb482, v61
	v_fma_f16 v65, v69, s23, v64
	v_add_f16_e32 v65, v65, v72
	v_mul_f16_e32 v72, 0xbbad, v70
	v_fma_f16 v64, v69, s23, -v64
	v_fma_f16 v73, v60, s24, v72
	v_add_f16_e32 v64, v64, v71
	v_fma_f16 v71, v60, s22, v72
	v_mul_f16_e32 v72, 0x3853, v61
	v_add_f16_e32 v71, v71, v75
	v_fma_f16 v74, v69, s16, v72
	v_mul_f16_e32 v75, 0x3abb, v70
	v_fma_f16 v72, v69, s16, -v72
	v_add_f16_e32 v73, v73, v76
	v_fma_f16 v76, v60, s15, v75
	v_add_f16_e32 v72, v72, v77
	v_fma_f16 v75, v60, s17, v75
	v_mul_f16_e32 v77, 0xba0c, v61
	v_add_f16_e32 v74, v74, v78
	v_add_f16_e32 v75, v75, v79
	v_fma_f16 v78, v69, s20, v77
	v_mul_f16_e32 v79, 0xb93d, v70
	v_fma_f16 v77, v69, s20, -v77
	v_add_f16_e32 v76, v76, v81
	v_fma_f16 v81, v60, s21, v79
	v_add_f16_e32 v77, v77, v80
	v_fma_f16 v79, v60, s19, v79
	v_mul_f16_e32 v80, 0x3b47, v61
	v_add_f16_e32 v85, v85, v91
	v_add_f16_e32 v78, v78, v82
	;; [unrolled: 1-line block ×3, first 2 shown]
	v_fma_f16 v82, v69, s8, v80
	v_mul_f16_e32 v83, 0x36a6, v70
	v_mul_f16_e32 v70, 0xb08e, v70
	v_add_f16_e32 v81, v81, v85
	v_add_f16_e32 v82, v82, v86
	v_fma_f16 v85, v60, s7, v83
	v_fma_f16 v80, v69, s8, -v80
	v_fma_f16 v83, v60, s9, v83
	v_mul_f16_e32 v61, 0xbbeb, v61
	v_fma_f16 v86, v60, s18, v70
	v_fma_f16 v60, v60, s6, v70
	v_add_f16_e32 v80, v80, v84
	v_fma_f16 v84, v69, s14, v61
	v_fma_f16 v61, v69, s14, -v61
	v_add_f16_e32 v69, v60, v53
	v_add_f16_e32 v53, v17, v49
	;; [unrolled: 1-line block ×25, first 2 shown]
	v_sub_f16_e32 v50, v50, v57
	v_add_f16_e32 v92, v92, v94
	v_add_f16_e32 v90, v90, v93
	;; [unrolled: 1-line block ×6, first 2 shown]
	v_sub_f16_e32 v49, v49, v56
	v_mul_f16_e32 v56, 0xb853, v50
	v_mul_f16_e32 v89, 0xbb47, v50
	;; [unrolled: 1-line block ×5, first 2 shown]
	v_add_f16_e32 v88, v88, v92
	v_add_f16_e32 v83, v83, v87
	;; [unrolled: 1-line block ×3, first 2 shown]
	v_fma_f16 v57, v60, s16, v56
	v_mul_f16_e32 v87, 0x3abb, v61
	v_fma_f16 v56, v60, s16, -v56
	v_fma_f16 v90, v60, s8, v89
	v_mul_f16_e32 v91, 0x36a6, v61
	v_fma_f16 v89, v60, s8, -v89
	v_fma_f16 v94, v60, s14, v93
	v_mul_f16_e32 v95, 0xb08e, v61
	v_fma_f16 v93, v60, s14, -v93
	v_fma_f16 v98, v60, s20, v97
	v_mul_f16_e32 v99, 0xb93d, v61
	v_fma_f16 v97, v60, s20, -v97
	v_fma_f16 v101, v60, s23, v50
	v_mul_f16_e32 v61, 0xbbad, v61
	v_fma_f16 v50, v60, s23, -v50
	v_add_f16_e32 v84, v84, v88
	v_add_f16_e32 v57, v17, v57
	v_fma_f16 v88, v49, s17, v87
	v_add_f16_e32 v56, v17, v56
	v_fma_f16 v87, v49, s15, v87
	;; [unrolled: 2-line block ×10, first 2 shown]
	v_add_f16_e32 v50, v40, v47
	v_sub_f16_e32 v40, v40, v47
	v_add_f16_e32 v88, v19, v88
	v_add_f16_e32 v87, v19, v87
	;; [unrolled: 1-line block ×11, first 2 shown]
	v_sub_f16_e32 v38, v38, v46
	v_mul_f16_e32 v46, 0xbb47, v40
	v_fma_f16 v47, v49, s8, v46
	v_add_f16_e32 v47, v47, v57
	v_mul_f16_e32 v57, 0x36a6, v50
	v_fma_f16 v46, v49, s8, -v46
	v_fma_f16 v60, v38, s9, v57
	v_add_f16_e32 v46, v46, v56
	v_fma_f16 v56, v38, s7, v57
	v_mul_f16_e32 v57, 0xba0c, v40
	v_fma_f16 v61, v49, s20, v57
	v_fma_f16 v57, v49, s20, -v57
	v_add_f16_e32 v56, v56, v87
	v_mul_f16_e32 v87, 0xb93d, v50
	v_add_f16_e32 v57, v57, v89
	v_mul_f16_e32 v89, 0x3482, v40
	v_add_f16_e32 v60, v60, v88
	v_add_f16_e32 v61, v61, v90
	v_fma_f16 v88, v38, s21, v87
	v_fma_f16 v87, v38, s19, v87
	v_fma_f16 v90, v49, s23, v89
	v_fma_f16 v89, v49, s23, -v89
	v_add_f16_e32 v87, v87, v91
	v_mul_f16_e32 v91, 0xbbad, v50
	v_add_f16_e32 v89, v89, v93
	v_mul_f16_e32 v93, 0x3beb, v40
	v_add_f16_e32 v88, v88, v92
	v_add_f16_e32 v90, v90, v94
	v_fma_f16 v92, v38, s22, v91
	v_fma_f16 v91, v38, s24, v91
	v_fma_f16 v94, v49, s14, v93
	v_fma_f16 v93, v49, s14, -v93
	v_mul_f16_e32 v40, 0x3853, v40
	v_add_f16_e32 v91, v91, v95
	v_mul_f16_e32 v95, 0xb08e, v50
	v_add_f16_e32 v93, v93, v97
	v_fma_f16 v97, v49, s16, v40
	v_mul_f16_e32 v50, 0x3abb, v50
	v_fma_f16 v40, v49, s16, -v40
	v_add_f16_e32 v92, v92, v96
	v_add_f16_e32 v94, v94, v98
	v_fma_f16 v96, v38, s6, v95
	v_fma_f16 v95, v38, s18, v95
	v_fma_f16 v98, v38, s15, v50
	v_add_f16_e32 v17, v40, v17
	v_fma_f16 v38, v38, s17, v50
	v_add_f16_e32 v40, v31, v33
	v_sub_f16_e32 v31, v31, v33
	v_add_f16_e32 v19, v38, v19
	v_add_f16_e32 v38, v30, v32
	v_sub_f16_e32 v30, v30, v32
	v_mul_f16_e32 v32, 0xbbeb, v31
	v_fma_f16 v33, v38, s14, v32
	v_add_f16_e32 v33, v33, v47
	v_mul_f16_e32 v47, 0xb08e, v40
	v_fma_f16 v32, v38, s14, -v32
	v_fma_f16 v49, v30, s18, v47
	v_add_f16_e32 v32, v32, v46
	v_fma_f16 v46, v30, s6, v47
	v_mul_f16_e32 v47, 0x3482, v31
	v_fma_f16 v50, v38, s23, v47
	v_fma_f16 v47, v38, s23, -v47
	v_add_f16_e32 v46, v46, v56
	v_mul_f16_e32 v56, 0xbbad, v40
	v_add_f16_e32 v47, v47, v57
	v_mul_f16_e32 v57, 0x3b47, v31
	v_add_f16_e32 v49, v49, v60
	v_add_f16_e32 v50, v50, v61
	v_fma_f16 v60, v30, s22, v56
	v_fma_f16 v56, v30, s24, v56
	v_fma_f16 v61, v38, s8, v57
	v_fma_f16 v57, v38, s8, -v57
	v_add_f16_e32 v56, v56, v87
	v_mul_f16_e32 v87, 0x36a6, v40
	v_add_f16_e32 v57, v57, v89
	v_mul_f16_e32 v89, 0xb853, v31
	v_add_f16_e32 v60, v60, v88
	v_add_f16_e32 v61, v61, v90
	v_fma_f16 v88, v30, s7, v87
	v_fma_f16 v87, v30, s9, v87
	v_fma_f16 v90, v38, s16, v89
	v_fma_f16 v89, v38, s16, -v89
	v_mul_f16_e32 v31, 0xba0c, v31
	v_add_f16_e32 v87, v87, v91
	v_mul_f16_e32 v91, 0x3abb, v40
	v_add_f16_e32 v89, v89, v93
	v_fma_f16 v93, v38, s20, v31
	v_mul_f16_e32 v40, 0xb93d, v40
	v_fma_f16 v31, v38, s20, -v31
	v_add_f16_e32 v88, v88, v92
	v_add_f16_e32 v90, v90, v94
	v_fma_f16 v92, v30, s17, v91
	v_fma_f16 v91, v30, s15, v91
	v_fma_f16 v94, v30, s21, v40
	v_add_f16_e32 v17, v31, v17
	v_fma_f16 v30, v30, s19, v40
	v_add_f16_e32 v31, v26, v28
	v_sub_f16_e32 v26, v26, v28
	v_add_f16_e32 v19, v30, v19
	v_add_f16_e32 v30, v25, v27
	v_sub_f16_e32 v25, v25, v27
	v_mul_f16_e32 v27, 0xba0c, v26
	v_fma_f16 v28, v30, s20, v27
	v_add_f16_e32 v28, v28, v33
	v_mul_f16_e32 v33, 0xb93d, v31
	v_fma_f16 v27, v30, s20, -v27
	v_fma_f16 v38, v25, s21, v33
	v_add_f16_e32 v27, v27, v32
	v_fma_f16 v32, v25, s19, v33
	v_mul_f16_e32 v33, 0x3beb, v26
	v_fma_f16 v40, v30, s14, v33
	v_fma_f16 v33, v30, s14, -v33
	v_add_f16_e32 v32, v32, v46
	v_mul_f16_e32 v46, 0xb08e, v31
	v_add_f16_e32 v33, v33, v47
	v_mul_f16_e32 v47, 0xb853, v26
	v_add_f16_e32 v38, v38, v49
	v_add_f16_e32 v40, v40, v50
	v_fma_f16 v49, v25, s6, v46
	v_fma_f16 v46, v25, s18, v46
	v_fma_f16 v50, v30, s16, v47
	v_fma_f16 v47, v30, s16, -v47
	v_add_f16_e32 v46, v46, v56
	v_mul_f16_e32 v56, 0x3abb, v31
	v_add_f16_e32 v47, v47, v57
	v_mul_f16_e32 v57, 0xb482, v26
	v_add_f16_e32 v49, v49, v60
	v_add_f16_e32 v50, v50, v61
	v_fma_f16 v60, v25, s17, v56
	v_fma_f16 v56, v25, s15, v56
	v_fma_f16 v61, v30, s23, v57
	v_fma_f16 v57, v30, s23, -v57
	v_mul_f16_e32 v26, 0x3b47, v26
	v_add_f16_e32 v56, v56, v87
	v_mul_f16_e32 v87, 0xbbad, v31
	v_add_f16_e32 v57, v57, v89
	v_fma_f16 v89, v30, s8, v26
	v_mul_f16_e32 v31, 0x36a6, v31
	v_fma_f16 v26, v30, s8, -v26
	v_add_f16_e32 v60, v60, v88
	v_add_f16_e32 v61, v61, v90
	v_fma_f16 v88, v25, s24, v87
	v_fma_f16 v87, v25, s22, v87
	v_fma_f16 v90, v25, s7, v31
	v_add_f16_e32 v17, v26, v17
	v_fma_f16 v25, v25, s9, v31
	v_add_f16_e32 v26, v22, v24
	v_sub_f16_e32 v22, v22, v24
	v_add_f16_e32 v19, v25, v19
	v_add_f16_e32 v25, v21, v23
	v_sub_f16_e32 v21, v21, v23
	v_mul_f16_e32 v23, 0xb482, v22
	v_fma_f16 v24, v25, s23, v23
	v_add_f16_e32 v96, v96, v100
	v_add_f16_e32 v24, v24, v28
	v_mul_f16_e32 v28, 0xbbad, v26
	v_fma_f16 v23, v25, s23, -v23
	v_add_f16_e32 v95, v95, v99
	v_add_f16_e32 v92, v92, v96
	;; [unrolled: 1-line block ×3, first 2 shown]
	v_fma_f16 v27, v21, s22, v28
	v_add_f16_e32 v91, v91, v95
	v_add_f16_e32 v88, v88, v92
	v_fma_f16 v30, v21, s24, v28
	v_add_f16_e32 v92, v27, v32
	v_mul_f16_e32 v27, 0x3853, v22
	v_add_f16_e32 v98, v98, v102
	v_add_f16_e32 v87, v87, v91
	;; [unrolled: 1-line block ×3, first 2 shown]
	v_fma_f16 v28, v25, s16, v27
	v_mul_f16_e32 v30, 0x3abb, v26
	v_fma_f16 v27, v25, s16, -v27
	v_mul_f16_e32 v32, 0xb93d, v26
	v_add_f16_e32 v97, v97, v101
	v_add_f16_e32 v94, v94, v98
	v_fma_f16 v31, v21, s15, v30
	v_add_f16_e32 v27, v27, v33
	v_fma_f16 v30, v21, s17, v30
	v_fma_f16 v33, v21, s21, v32
	;; [unrolled: 1-line block ×3, first 2 shown]
	v_mul_f16_e32 v38, 0x36a6, v26
	v_add_f16_e32 v93, v93, v97
	v_add_f16_e32 v90, v90, v94
	;; [unrolled: 1-line block ×4, first 2 shown]
	v_mul_f16_e32 v30, 0xba0c, v22
	v_add_f16_e32 v96, v32, v56
	v_mul_f16_e32 v32, 0x3b47, v22
	v_fma_f16 v40, v21, s7, v38
	v_fma_f16 v38, v21, s9, v38
	v_mul_f16_e32 v22, 0xbbeb, v22
	v_add_f16_e32 v89, v89, v93
	v_add_f16_e32 v93, v31, v49
	v_fma_f16 v31, v25, s20, v30
	v_add_f16_e32 v95, v33, v60
	v_fma_f16 v30, v25, s20, -v30
	v_fma_f16 v33, v25, s8, v32
	v_fma_f16 v32, v25, s8, -v32
	v_add_f16_e32 v87, v38, v87
	v_fma_f16 v38, v25, s14, v22
	v_mul_f16_e32 v26, 0xb08e, v26
	v_fma_f16 v22, v25, s14, -v22
	v_add_f16_e32 v31, v31, v50
	v_add_f16_e32 v30, v30, v47
	;; [unrolled: 1-line block ×6, first 2 shown]
	v_fma_f16 v40, v21, s18, v26
	v_add_f16_e32 v17, v22, v17
	v_fma_f16 v21, v21, s6, v26
	v_lshl_add_u32 v6, v6, 1, 0
	v_add_f16_e32 v89, v40, v90
	v_add_f16_e32 v90, v21, v19
	s_waitcnt lgkmcnt(0)
	; wave barrier
	ds_write_b16 v0, v20
	ds_write_b16 v0, v52 offset:102
	ds_write_b16 v0, v55 offset:204
	;; [unrolled: 1-line block ×32, first 2 shown]
	s_waitcnt lgkmcnt(0)
	; wave barrier
	s_waitcnt lgkmcnt(0)
	ds_read_u16 v23, v0 offset:1326
	ds_read_u16 v28, v0 offset:1428
	;; [unrolled: 1-line block ×3, first 2 shown]
	ds_read_u16 v17, v0
	ds_read_u16 v19, v0 offset:102
	ds_read_u16 v22, v0 offset:204
	;; [unrolled: 1-line block ×29, first 2 shown]
	s_waitcnt lgkmcnt(0)
	; wave barrier
	s_waitcnt lgkmcnt(0)
	ds_write_b16 v0, v18
	ds_write_b16 v0, v35 offset:102
	ds_write_b16 v0, v37 offset:204
	;; [unrolled: 1-line block ×32, first 2 shown]
	s_waitcnt lgkmcnt(0)
	; wave barrier
	s_waitcnt lgkmcnt(0)
	s_and_saveexec_b64 s[6:7], s[0:1]
	s_cbranch_execz .LBB0_21
; %bb.20:
	v_lshlrev_b32_e32 v5, 1, v5
	v_mov_b32_e32 v6, 0
	v_lshlrev_b64 v[34:35], 2, v[5:6]
	v_lshlrev_b32_e32 v5, 1, v16
	v_mov_b32_e32 v45, s13
	v_add_co_u32_e32 v34, vcc, s12, v34
	v_lshlrev_b64 v[36:37], 2, v[5:6]
	v_addc_co_u32_e32 v35, vcc, v45, v35, vcc
	v_add_co_u32_e32 v36, vcc, s12, v36
	global_load_dwordx2 v[34:35], v[34:35], off offset:2176
	v_addc_co_u32_e32 v37, vcc, v45, v37, vcc
	global_load_dwordx2 v[36:37], v[36:37], off offset:2176
	v_lshlrev_b32_e32 v5, 1, v15
	v_lshlrev_b64 v[15:16], 2, v[5:6]
	v_lshlrev_b32_e32 v5, 1, v14
	v_add_co_u32_e32 v15, vcc, s12, v15
	v_addc_co_u32_e32 v16, vcc, v45, v16, vcc
	global_load_dwordx2 v[41:42], v[15:16], off offset:2176
	v_mul_lo_u32 v15, s3, v3
	v_mul_lo_u32 v16, s2, v4
	v_mad_u64_u32 v[3:4], s[0:1], s2, v3, 0
	ds_read_u16 v18, v0 offset:3264
	ds_read_u16 v66, v0 offset:1530
	;; [unrolled: 1-line block ×16, first 2 shown]
	s_mov_b32 s0, 0xd347a4bd
	v_add3_u32 v4, v4, v16, v15
	v_lshlrev_b64 v[14:15], 2, v[5:6]
	v_lshlrev_b32_e32 v5, 1, v13
	v_add_co_u32_e32 v13, vcc, s12, v14
	v_addc_co_u32_e32 v14, vcc, v45, v15, vcc
	global_load_dwordx2 v[62:63], v[13:14], off offset:2176
	v_lshlrev_b64 v[43:44], 2, v[5:6]
	v_lshlrev_b64 v[3:4], 2, v[3:4]
	v_add_co_u32_e32 v43, vcc, s12, v43
	v_addc_co_u32_e32 v44, vcc, v45, v44, vcc
	s_movk_i32 s1, 0x1000
	ds_read_u16 v80, v0 offset:408
	s_waitcnt vmcnt(3)
	v_mul_f16_sdwa v5, v60, v34 dst_sel:DWORD dst_unused:UNUSED_PAD src0_sel:DWORD src1_sel:WORD_1
	v_mul_f16_sdwa v13, v61, v35 dst_sel:DWORD dst_unused:UNUSED_PAD src0_sel:DWORD src1_sel:WORD_1
	s_waitcnt lgkmcnt(5)
	v_mul_f16_sdwa v14, v64, v34 dst_sel:DWORD dst_unused:UNUSED_PAD src0_sel:DWORD src1_sel:WORD_1
	v_mul_f16_sdwa v15, v18, v35 dst_sel:DWORD dst_unused:UNUSED_PAD src0_sel:DWORD src1_sel:WORD_1
	v_fma_f16 v5, v34, v64, -v5
	v_fma_f16 v13, v35, v18, -v13
	v_fma_f16 v14, v60, v34, v14
	v_fma_f16 v15, v61, v35, v15
	s_waitcnt vmcnt(2)
	v_mul_f16_sdwa v16, v30, v37 dst_sel:DWORD dst_unused:UNUSED_PAD src0_sel:DWORD src1_sel:WORD_1
	v_mul_f16_sdwa v18, v24, v36 dst_sel:DWORD dst_unused:UNUSED_PAD src0_sel:DWORD src1_sel:WORD_1
	s_waitcnt lgkmcnt(4)
	v_mul_f16_sdwa v34, v65, v36 dst_sel:DWORD dst_unused:UNUSED_PAD src0_sel:DWORD src1_sel:WORD_1
	s_waitcnt lgkmcnt(2)
	v_mul_f16_sdwa v35, v75, v37 dst_sel:DWORD dst_unused:UNUSED_PAD src0_sel:DWORD src1_sel:WORD_1
	v_add_f16_e32 v60, v5, v13
	v_add_f16_e32 v77, v14, v15
	v_fma_f16 v75, v37, v75, -v16
	v_fma_f16 v65, v36, v65, -v18
	v_sub_f16_e32 v61, v14, v15
	v_add_f16_e32 v64, v39, v5
	v_sub_f16_e32 v5, v5, v13
	v_add_f16_e32 v14, v59, v14
	v_fma_f16 v78, v24, v36, v34
	v_fma_f16 v37, v30, v37, v35
	v_fma_f16 v16, v60, -0.5, v39
	v_fma_f16 v30, v77, -0.5, v59
	v_add_f16_e32 v34, v48, v65
	v_add_f16_e32 v39, v75, v65
	;; [unrolled: 1-line block ×4, first 2 shown]
	v_fma_f16 v13, v61, s4, v16
	v_fma_f16 v15, v61, s5, v16
	;; [unrolled: 1-line block ×4, first 2 shown]
	v_add_f16_e32 v35, v75, v34
	v_fma_f16 v5, v39, -0.5, v48
	v_sub_f16_e32 v34, v78, v37
	v_add_f16_e32 v36, v31, v78
	v_fma_f16 v30, v34, s4, v5
	v_fma_f16 v34, v34, s5, v5
	v_add_f16_e32 v5, v37, v78
	v_add_f16_e32 v36, v37, v36
	v_fma_f16 v5, v5, -0.5, v31
	v_sub_f16_e32 v37, v65, v75
	v_fma_f16 v31, v37, s5, v5
	v_fma_f16 v37, v37, s4, v5
	s_waitcnt vmcnt(1)
	v_mul_f16_sdwa v5, v57, v41 dst_sel:DWORD dst_unused:UNUSED_PAD src0_sel:DWORD src1_sel:WORD_1
	v_fma_f16 v61, v41, v74, -v5
	v_mul_f16_sdwa v5, v58, v42 dst_sel:DWORD dst_unused:UNUSED_PAD src0_sel:DWORD src1_sel:WORD_1
	s_waitcnt lgkmcnt(1)
	v_fma_f16 v77, v42, v76, -v5
	v_add_f16_e32 v5, v61, v77
	global_load_dwordx2 v[59:60], v[43:44], off offset:2176
	v_fma_f16 v78, v5, -0.5, v71
	v_mul_f16_sdwa v5, v74, v41 dst_sel:DWORD dst_unused:UNUSED_PAD src0_sel:DWORD src1_sel:WORD_1
	v_fma_f16 v57, v57, v41, v5
	v_lshlrev_b32_e32 v5, 1, v12
	v_lshlrev_b64 v[43:44], 2, v[5:6]
	ds_read_u16 v48, v0 offset:1836
	v_mul_f16_sdwa v5, v76, v42 dst_sel:DWORD dst_unused:UNUSED_PAD src0_sel:DWORD src1_sel:WORD_1
	ds_read_u16 v75, v0 offset:2958
	v_add_co_u32_e32 v43, vcc, s12, v43
	v_fma_f16 v5, v58, v42, v5
	v_addc_co_u32_e32 v44, vcc, v45, v44, vcc
	v_add_f16_e32 v39, v57, v5
	global_load_dwordx2 v[64:65], v[43:44], off offset:2176
	v_fma_f16 v42, v39, -0.5, v56
	v_add_f16_e32 v44, v56, v57
	ds_read_u16 v56, v0 offset:714
	ds_read_u16 v58, v0 offset:1734
	v_sub_f16_e32 v41, v57, v5
	v_sub_f16_e32 v43, v61, v77
	v_add_f16_e32 v44, v44, v5
	s_waitcnt vmcnt(2)
	v_mul_f16_sdwa v5, v54, v62 dst_sel:DWORD dst_unused:UNUSED_PAD src0_sel:DWORD src1_sel:WORD_1
	v_fma_f16 v39, v43, s5, v42
	v_fma_f16 v42, v43, s4, v42
	v_add_f16_e32 v43, v71, v61
	ds_read_u16 v61, v0 offset:2856
	s_waitcnt lgkmcnt(4)
	v_fma_f16 v57, v62, v48, -v5
	v_mul_f16_sdwa v5, v55, v63 dst_sel:DWORD dst_unused:UNUSED_PAD src0_sel:DWORD src1_sel:WORD_1
	s_waitcnt lgkmcnt(3)
	v_fma_f16 v71, v63, v75, -v5
	v_add_f16_e32 v5, v57, v71
	ds_read_u16 v74, v0 offset:612
	s_waitcnt lgkmcnt(3)
	v_fma_f16 v76, v5, -0.5, v56
	v_mul_f16_sdwa v5, v48, v62 dst_sel:DWORD dst_unused:UNUSED_PAD src0_sel:DWORD src1_sel:WORD_1
	v_fma_f16 v62, v54, v62, v5
	v_mul_f16_sdwa v5, v75, v63 dst_sel:DWORD dst_unused:UNUSED_PAD src0_sel:DWORD src1_sel:WORD_1
	v_fma_f16 v63, v55, v63, v5
	v_lshlrev_b32_e32 v5, 1, v10
	v_lshlrev_b64 v[54:55], 2, v[5:6]
	v_add_f16_e32 v43, v43, v77
	v_add_co_u32_e32 v54, vcc, s12, v54
	v_addc_co_u32_e32 v55, vcc, v45, v55, vcc
	global_load_dwordx2 v[54:55], v[54:55], off offset:2176
	v_add_f16_e32 v77, v62, v63
	v_sub_f16_e32 v75, v62, v63
	v_fma_f16 v5, v77, -0.5, v53
	v_sub_f16_e32 v77, v57, v71
	v_fma_f16 v48, v75, s4, v76
	v_fma_f16 v10, v77, s5, v5
	;; [unrolled: 1-line block ×4, first 2 shown]
	v_add_f16_e32 v5, v56, v57
	v_add_f16_e32 v71, v5, v71
	;; [unrolled: 1-line block ×4, first 2 shown]
	v_lshlrev_b32_e32 v5, 1, v9
	v_lshlrev_b64 v[56:57], 2, v[5:6]
	ds_read_u16 v62, v0 offset:1632
	ds_read_u16 v63, v0 offset:2754
	v_fma_f16 v12, v41, s4, v78
	v_fma_f16 v41, v41, s5, v78
	ds_read_u16 v78, v0 offset:510
	v_add_co_u32_e32 v56, vcc, s12, v56
	v_addc_co_u32_e32 v57, vcc, v45, v57, vcc
	global_load_dwordx2 v[56:57], v[56:57], off offset:2176
	s_waitcnt vmcnt(3)
	v_mul_f16_sdwa v5, v51, v59 dst_sel:DWORD dst_unused:UNUSED_PAD src0_sel:DWORD src1_sel:WORD_1
	s_waitcnt lgkmcnt(5)
	v_fma_f16 v5, v59, v58, -v5
	v_mul_f16_sdwa v58, v58, v59 dst_sel:DWORD dst_unused:UNUSED_PAD src0_sel:DWORD src1_sel:WORD_1
	v_fma_f16 v51, v51, v59, v58
	s_waitcnt lgkmcnt(4)
	v_mul_f16_sdwa v58, v61, v60 dst_sel:DWORD dst_unused:UNUSED_PAD src0_sel:DWORD src1_sel:WORD_1
	v_mul_f16_sdwa v9, v52, v60 dst_sel:DWORD dst_unused:UNUSED_PAD src0_sel:DWORD src1_sel:WORD_1
	v_fma_f16 v52, v52, v60, v58
	v_fma_f16 v9, v60, v61, -v9
	v_add_f16_e32 v60, v51, v52
	v_add_f16_e32 v77, v5, v9
	v_fma_f16 v60, v60, -0.5, v50
	v_sub_f16_e32 v61, v5, v9
	s_waitcnt lgkmcnt(3)
	v_add_f16_e32 v5, v74, v5
	v_fma_f16 v79, v61, s5, v60
	v_fma_f16 v60, v61, s4, v60
	v_add_f16_e32 v61, v5, v9
	v_add_f16_e32 v5, v50, v51
	v_sub_f16_e32 v58, v51, v52
	v_add_f16_e32 v51, v5, v52
	s_waitcnt vmcnt(2)
	v_mul_f16_sdwa v5, v47, v64 dst_sel:DWORD dst_unused:UNUSED_PAD src0_sel:DWORD src1_sel:WORD_1
	ds_read_u16 v52, v0 offset:2652
	s_waitcnt lgkmcnt(3)
	v_fma_f16 v50, v64, v62, -v5
	v_mul_f16_sdwa v5, v49, v65 dst_sel:DWORD dst_unused:UNUSED_PAD src0_sel:DWORD src1_sel:WORD_1
	v_mul_f16_sdwa v62, v62, v64 dst_sel:DWORD dst_unused:UNUSED_PAD src0_sel:DWORD src1_sel:WORD_1
	v_fma_f16 v77, v77, -0.5, v74
	s_waitcnt lgkmcnt(2)
	v_fma_f16 v74, v65, v63, -v5
	v_fma_f16 v47, v47, v64, v62
	v_mul_f16_sdwa v62, v63, v65 dst_sel:DWORD dst_unused:UNUSED_PAD src0_sel:DWORD src1_sel:WORD_1
	v_fma_f16 v59, v58, s4, v77
	v_fma_f16 v58, v58, s5, v77
	v_add_f16_e32 v77, v50, v74
	v_lshlrev_b32_e32 v5, 1, v8
	v_fma_f16 v62, v49, v65, v62
	v_lshlrev_b64 v[8:9], 2, v[5:6]
	s_waitcnt lgkmcnt(1)
	v_fma_f16 v5, v77, -0.5, v78
	v_sub_f16_e32 v49, v47, v62
	v_add_f16_e32 v64, v47, v62
	v_fma_f16 v63, v49, s4, v5
	v_fma_f16 v64, v64, -0.5, v40
	v_sub_f16_e32 v65, v50, v74
	v_fma_f16 v81, v49, s5, v5
	v_add_f16_e32 v5, v78, v50
	v_fma_f16 v77, v65, s5, v64
	v_fma_f16 v64, v65, s4, v64
	v_add_f16_e32 v65, v5, v74
	v_lshlrev_b32_e32 v5, 1, v7
	v_add_co_u32_e32 v8, vcc, s12, v8
	v_lshlrev_b64 v[49:50], 2, v[5:6]
	v_addc_co_u32_e32 v9, vcc, v45, v9, vcc
	v_add_co_u32_e32 v49, vcc, s12, v49
	v_addc_co_u32_e32 v50, vcc, v45, v50, vcc
	v_add_f16_e32 v40, v40, v47
	global_load_dwordx2 v[49:50], v[49:50], off offset:2176
	s_waitcnt vmcnt(2)
	v_mul_f16_sdwa v5, v38, v54 dst_sel:DWORD dst_unused:UNUSED_PAD src0_sel:DWORD src1_sel:WORD_1
	global_load_dwordx2 v[8:9], v[8:9], off offset:2176
	v_add_f16_e32 v7, v40, v62
	v_fma_f16 v40, v54, v66, -v5
	v_mul_f16_sdwa v5, v46, v55 dst_sel:DWORD dst_unused:UNUSED_PAD src0_sel:DWORD src1_sel:WORD_1
	s_waitcnt lgkmcnt(0)
	v_fma_f16 v74, v55, v52, -v5
	v_add_f16_e32 v5, v40, v74
	ds_read_u16 v78, v0 offset:306
	v_fma_f16 v82, v5, -0.5, v80
	v_mul_f16_sdwa v5, v66, v54 dst_sel:DWORD dst_unused:UNUSED_PAD src0_sel:DWORD src1_sel:WORD_1
	v_fma_f16 v38, v38, v54, v5
	v_mul_f16_sdwa v5, v52, v55 dst_sel:DWORD dst_unused:UNUSED_PAD src0_sel:DWORD src1_sel:WORD_1
	v_fma_f16 v52, v46, v55, v5
	v_lshlrev_b32_e32 v5, 1, v11
	v_lshlrev_b64 v[46:47], 2, v[5:6]
	v_add_f16_e32 v66, v38, v52
	v_add_co_u32_e32 v46, vcc, s12, v46
	v_addc_co_u32_e32 v47, vcc, v45, v47, vcc
	global_load_dwordx2 v[45:46], v[46:47], off offset:2176
	ds_read_u16 v62, v0 offset:2550
	v_fma_f16 v5, v66, -0.5, v32
	v_sub_f16_e32 v47, v40, v74
	v_fma_f16 v66, v47, s5, v5
	v_fma_f16 v47, v47, s4, v5
	v_add_f16_e32 v5, v80, v40
	v_add_f16_e32 v40, v5, v74
	;; [unrolled: 1-line block ×4, first 2 shown]
	s_waitcnt vmcnt(3)
	v_mul_f16_sdwa v5, v28, v56 dst_sel:DWORD dst_unused:UNUSED_PAD src0_sel:DWORD src1_sel:WORD_1
	v_sub_f16_e32 v54, v38, v52
	ds_read_u16 v52, v0 offset:2448
	v_fma_f16 v5, v56, v67, -v5
	v_mul_f16_sdwa v38, v33, v57 dst_sel:DWORD dst_unused:UNUSED_PAD src0_sel:DWORD src1_sel:WORD_1
	v_mul_f16_sdwa v67, v67, v56 dst_sel:DWORD dst_unused:UNUSED_PAD src0_sel:DWORD src1_sel:WORD_1
	s_waitcnt lgkmcnt(1)
	v_fma_f16 v38, v57, v62, -v38
	v_fma_f16 v28, v28, v56, v67
	v_mul_f16_sdwa v56, v62, v57 dst_sel:DWORD dst_unused:UNUSED_PAD src0_sel:DWORD src1_sel:WORD_1
	v_add_f16_e32 v74, v5, v38
	ds_read_u16 v80, v0 offset:204
	v_fma_f16 v33, v33, v57, v56
	v_sub_f16_e32 v67, v5, v38
	v_add_f16_e32 v5, v78, v5
	v_add_f16_e32 v62, v28, v33
	;; [unrolled: 1-line block ×4, first 2 shown]
	v_fma_f16 v62, v62, -0.5, v27
	v_add_f16_e32 v27, v5, v33
	v_sub_f16_e32 v56, v28, v33
	v_fma_f16 v55, v54, s4, v82
	v_fma_f16 v54, v54, s5, v82
	;; [unrolled: 1-line block ×4, first 2 shown]
	ds_read_u16 v67, v0 offset:102
	v_fma_f16 v74, v74, -0.5, v78
	v_fma_f16 v57, v56, s4, v74
	v_fma_f16 v56, v56, s5, v74
	ds_read_u16 v0, v0
	v_add_co_u32_e32 v3, vcc, s10, v3
	s_waitcnt vmcnt(1)
	v_mul_f16_sdwa v5, v23, v8 dst_sel:DWORD dst_unused:UNUSED_PAD src0_sel:DWORD src1_sel:WORD_1
	v_fma_f16 v5, v8, v68, -v5
	v_mul_f16_sdwa v68, v68, v8 dst_sel:DWORD dst_unused:UNUSED_PAD src0_sel:DWORD src1_sel:WORD_1
	v_mul_f16_sdwa v28, v29, v9 dst_sel:DWORD dst_unused:UNUSED_PAD src0_sel:DWORD src1_sel:WORD_1
	v_fma_f16 v8, v23, v8, v68
	s_waitcnt lgkmcnt(3)
	v_mul_f16_sdwa v23, v52, v9 dst_sel:DWORD dst_unused:UNUSED_PAD src0_sel:DWORD src1_sel:WORD_1
	v_fma_f16 v28, v9, v52, -v28
	v_fma_f16 v9, v29, v9, v23
	v_add_f16_e32 v33, v5, v28
	v_add_f16_e32 v52, v8, v9
	v_sub_f16_e32 v68, v5, v28
	s_waitcnt lgkmcnt(2)
	v_add_f16_e32 v5, v80, v5
	v_fma_f16 v33, v33, -0.5, v80
	v_sub_f16_e32 v23, v8, v9
	v_fma_f16 v52, v52, -0.5, v22
	v_add_f16_e32 v28, v5, v28
	v_add_f16_e32 v5, v22, v8
	v_fma_f16 v29, v23, s4, v33
	v_fma_f16 v74, v68, s5, v52
	;; [unrolled: 1-line block ×4, first 2 shown]
	v_add_f16_e32 v8, v5, v9
	v_mul_f16_sdwa v5, v25, v49 dst_sel:DWORD dst_unused:UNUSED_PAD src0_sel:DWORD src1_sel:WORD_1
	v_mul_f16_sdwa v9, v26, v50 dst_sel:DWORD dst_unused:UNUSED_PAD src0_sel:DWORD src1_sel:WORD_1
	;; [unrolled: 1-line block ×3, first 2 shown]
	v_fma_f16 v5, v49, v69, -v5
	v_fma_f16 v9, v50, v72, -v9
	v_fma_f16 v25, v25, v49, v52
	v_mul_f16_sdwa v49, v72, v50 dst_sel:DWORD dst_unused:UNUSED_PAD src0_sel:DWORD src1_sel:WORD_1
	v_add_f16_e32 v22, v5, v9
	v_fma_f16 v26, v26, v50, v49
	v_sub_f16_e32 v68, v5, v9
	s_waitcnt lgkmcnt(1)
	v_add_f16_e32 v5, v67, v5
	v_add_f16_e32 v52, v25, v26
	;; [unrolled: 1-line block ×4, first 2 shown]
	v_sub_f16_e32 v49, v25, v26
	v_fma_f16 v52, v52, -0.5, v19
	v_add_f16_e32 v19, v5, v26
	s_waitcnt vmcnt(0)
	v_mul_f16_sdwa v5, v20, v45 dst_sel:DWORD dst_unused:UNUSED_PAD src0_sel:DWORD src1_sel:WORD_1
	v_mul_f16_sdwa v25, v21, v46 dst_sel:DWORD dst_unused:UNUSED_PAD src0_sel:DWORD src1_sel:WORD_1
	v_fma_f16 v5, v45, v70, -v5
	v_fma_f16 v25, v46, v73, -v25
	v_fma_f16 v22, v22, -0.5, v67
	v_add_f16_e32 v26, v5, v25
	v_fma_f16 v50, v49, s4, v22
	v_fma_f16 v69, v68, s5, v52
	;; [unrolled: 1-line block ×4, first 2 shown]
	s_waitcnt lgkmcnt(0)
	v_fma_f16 v26, v26, -0.5, v0
	v_mul_f16_sdwa v52, v70, v45 dst_sel:DWORD dst_unused:UNUSED_PAD src0_sel:DWORD src1_sel:WORD_1
	v_sub_f16_e32 v67, v5, v25
	v_add_f16_e32 v0, v0, v5
	v_mul_hi_u32 v5, v11, s0
	v_fma_f16 v20, v20, v45, v52
	v_mul_f16_sdwa v45, v73, v46 dst_sel:DWORD dst_unused:UNUSED_PAD src0_sel:DWORD src1_sel:WORD_1
	v_fma_f16 v21, v21, v46, v45
	v_add_f16_e32 v52, v20, v21
	v_add_f16_e32 v25, v0, v25
	;; [unrolled: 1-line block ×3, first 2 shown]
	v_fma_f16 v52, v52, -0.5, v17
	v_add_f16_e32 v17, v0, v21
	v_sub_u32_e32 v0, v11, v5
	v_lshrrev_b32_e32 v0, 1, v0
	v_add_u32_e32 v0, v0, v5
	v_lshrrev_b32_e32 v0, 9, v0
	v_mul_u32_u24_e32 v0, 0x231, v0
	v_sub_u32_e32 v5, v11, v0
	v_mov_b32_e32 v0, s11
	v_addc_co_u32_e32 v4, vcc, v0, v4, vcc
	v_lshlrev_b64 v[0:1], 2, v[1:2]
	v_sub_f16_e32 v45, v20, v21
	v_add_co_u32_e32 v2, vcc, v3, v0
	v_addc_co_u32_e32 v3, vcc, v4, v1, vcc
	v_lshlrev_b32_e32 v0, 2, v5
	v_add_co_u32_e32 v0, vcc, v2, v0
	v_add_u32_e32 v5, 51, v11
	v_fma_f16 v46, v45, s4, v26
	v_fma_f16 v26, v45, s5, v26
	;; [unrolled: 1-line block ×3, first 2 shown]
	v_addc_co_u32_e32 v1, vcc, 0, v3, vcc
	v_pack_b32_f16 v4, v17, v25
	v_mul_hi_u32 v17, v5, s0
	global_store_dword v[0:1], v4, off
	v_pack_b32_f16 v4, v45, v26
	v_fma_f16 v68, v67, s5, v52
	global_store_dword v[0:1], v4, off offset:2244
	v_add_co_u32_e32 v0, vcc, s1, v0
	v_pack_b32_f16 v4, v68, v46
	v_addc_co_u32_e32 v1, vcc, 0, v1, vcc
	global_store_dword v[0:1], v4, off offset:392
	v_sub_u32_e32 v0, v5, v17
	v_lshrrev_b32_e32 v0, 1, v0
	v_add_u32_e32 v0, v0, v17
	v_lshrrev_b32_e32 v0, 9, v0
	v_mul_u32_u24_e32 v1, 0x231, v0
	v_sub_u32_e32 v1, v5, v1
	s_movk_i32 s1, 0x693
	v_mad_u32_u24 v5, v0, s1, v1
	v_lshlrev_b64 v[0:1], 2, v[5:6]
	v_pack_b32_f16 v4, v19, v9
	v_add_co_u32_e32 v0, vcc, v2, v0
	v_addc_co_u32_e32 v1, vcc, v3, v1, vcc
	global_store_dword v[0:1], v4, off
	v_add_u32_e32 v0, 0x231, v5
	v_mov_b32_e32 v1, v6
	v_lshlrev_b64 v[0:1], 2, v[0:1]
	v_pack_b32_f16 v4, v49, v22
	v_add_co_u32_e32 v0, vcc, v2, v0
	v_addc_co_u32_e32 v1, vcc, v3, v1, vcc
	global_store_dword v[0:1], v4, off
	v_add_u32_e32 v5, 0x462, v5
	v_add_u32_e32 v4, 0x66, v11
	v_lshlrev_b64 v[0:1], 2, v[5:6]
	v_mul_hi_u32 v5, v4, s0
	v_add_co_u32_e32 v0, vcc, v2, v0
	v_addc_co_u32_e32 v1, vcc, v3, v1, vcc
	v_pack_b32_f16 v9, v69, v50
	global_store_dword v[0:1], v9, off
	v_sub_u32_e32 v0, v4, v5
	v_lshrrev_b32_e32 v0, 1, v0
	v_add_u32_e32 v0, v0, v5
	v_lshrrev_b32_e32 v0, 9, v0
	v_mul_u32_u24_e32 v1, 0x231, v0
	v_sub_u32_e32 v1, v4, v1
	v_mad_u32_u24 v5, v0, s1, v1
	v_lshlrev_b64 v[0:1], 2, v[5:6]
	v_pack_b32_f16 v4, v8, v28
	v_add_co_u32_e32 v0, vcc, v2, v0
	v_addc_co_u32_e32 v1, vcc, v3, v1, vcc
	global_store_dword v[0:1], v4, off
	v_add_u32_e32 v0, 0x231, v5
	v_mov_b32_e32 v1, v6
	v_lshlrev_b64 v[0:1], 2, v[0:1]
	v_pack_b32_f16 v4, v33, v23
	v_add_co_u32_e32 v0, vcc, v2, v0
	v_addc_co_u32_e32 v1, vcc, v3, v1, vcc
	global_store_dword v[0:1], v4, off
	v_add_u32_e32 v5, 0x462, v5
	v_add_u32_e32 v4, 0x99, v11
	v_lshlrev_b64 v[0:1], 2, v[5:6]
	v_mul_hi_u32 v5, v4, s0
	v_add_co_u32_e32 v0, vcc, v2, v0
	v_addc_co_u32_e32 v1, vcc, v3, v1, vcc
	v_pack_b32_f16 v8, v74, v29
	global_store_dword v[0:1], v8, off
	v_sub_u32_e32 v0, v4, v5
	v_lshrrev_b32_e32 v0, 1, v0
	v_add_u32_e32 v0, v0, v5
	v_lshrrev_b32_e32 v0, 9, v0
	v_mul_u32_u24_e32 v1, 0x231, v0
	v_sub_u32_e32 v1, v4, v1
	;; [unrolled: 27-line block ×9, first 2 shown]
	v_mad_u32_u24 v5, v0, s1, v1
	v_lshlrev_b64 v[0:1], 2, v[5:6]
	v_pack_b32_f16 v4, v24, v18
	v_add_co_u32_e32 v0, vcc, v2, v0
	v_addc_co_u32_e32 v1, vcc, v3, v1, vcc
	global_store_dword v[0:1], v4, off
	v_add_u32_e32 v0, 0x231, v5
	v_mov_b32_e32 v1, v6
	v_lshlrev_b64 v[0:1], 2, v[0:1]
	v_pack_b32_f16 v4, v16, v15
	v_add_co_u32_e32 v0, vcc, v2, v0
	v_addc_co_u32_e32 v1, vcc, v3, v1, vcc
	v_add_u32_e32 v5, 0x462, v5
	global_store_dword v[0:1], v4, off
	v_lshlrev_b64 v[0:1], 2, v[5:6]
	v_add_co_u32_e32 v0, vcc, v2, v0
	v_addc_co_u32_e32 v1, vcc, v3, v1, vcc
	v_pack_b32_f16 v2, v14, v13
	global_store_dword v[0:1], v2, off
.LBB0_21:
	s_endpgm
	.section	.rodata,"a",@progbits
	.p2align	6, 0x0
	.amdhsa_kernel fft_rtc_back_len1683_factors_17_3_11_3_wgs_51_tpt_51_halfLds_half_op_CI_CI_unitstride_sbrr_dirReg
		.amdhsa_group_segment_fixed_size 0
		.amdhsa_private_segment_fixed_size 0
		.amdhsa_kernarg_size 104
		.amdhsa_user_sgpr_count 6
		.amdhsa_user_sgpr_private_segment_buffer 1
		.amdhsa_user_sgpr_dispatch_ptr 0
		.amdhsa_user_sgpr_queue_ptr 0
		.amdhsa_user_sgpr_kernarg_segment_ptr 1
		.amdhsa_user_sgpr_dispatch_id 0
		.amdhsa_user_sgpr_flat_scratch_init 0
		.amdhsa_user_sgpr_private_segment_size 0
		.amdhsa_uses_dynamic_stack 0
		.amdhsa_system_sgpr_private_segment_wavefront_offset 0
		.amdhsa_system_sgpr_workgroup_id_x 1
		.amdhsa_system_sgpr_workgroup_id_y 0
		.amdhsa_system_sgpr_workgroup_id_z 0
		.amdhsa_system_sgpr_workgroup_info 0
		.amdhsa_system_vgpr_workitem_id 0
		.amdhsa_next_free_vgpr 126
		.amdhsa_next_free_sgpr 75
		.amdhsa_reserve_vcc 1
		.amdhsa_reserve_flat_scratch 0
		.amdhsa_float_round_mode_32 0
		.amdhsa_float_round_mode_16_64 0
		.amdhsa_float_denorm_mode_32 3
		.amdhsa_float_denorm_mode_16_64 3
		.amdhsa_dx10_clamp 1
		.amdhsa_ieee_mode 1
		.amdhsa_fp16_overflow 0
		.amdhsa_exception_fp_ieee_invalid_op 0
		.amdhsa_exception_fp_denorm_src 0
		.amdhsa_exception_fp_ieee_div_zero 0
		.amdhsa_exception_fp_ieee_overflow 0
		.amdhsa_exception_fp_ieee_underflow 0
		.amdhsa_exception_fp_ieee_inexact 0
		.amdhsa_exception_int_div_zero 0
	.end_amdhsa_kernel
	.text
.Lfunc_end0:
	.size	fft_rtc_back_len1683_factors_17_3_11_3_wgs_51_tpt_51_halfLds_half_op_CI_CI_unitstride_sbrr_dirReg, .Lfunc_end0-fft_rtc_back_len1683_factors_17_3_11_3_wgs_51_tpt_51_halfLds_half_op_CI_CI_unitstride_sbrr_dirReg
                                        ; -- End function
	.section	.AMDGPU.csdata,"",@progbits
; Kernel info:
; codeLenInByte = 24284
; NumSgprs: 79
; NumVgprs: 126
; ScratchSize: 0
; MemoryBound: 0
; FloatMode: 240
; IeeeMode: 1
; LDSByteSize: 0 bytes/workgroup (compile time only)
; SGPRBlocks: 9
; VGPRBlocks: 31
; NumSGPRsForWavesPerEU: 79
; NumVGPRsForWavesPerEU: 126
; Occupancy: 2
; WaveLimiterHint : 1
; COMPUTE_PGM_RSRC2:SCRATCH_EN: 0
; COMPUTE_PGM_RSRC2:USER_SGPR: 6
; COMPUTE_PGM_RSRC2:TRAP_HANDLER: 0
; COMPUTE_PGM_RSRC2:TGID_X_EN: 1
; COMPUTE_PGM_RSRC2:TGID_Y_EN: 0
; COMPUTE_PGM_RSRC2:TGID_Z_EN: 0
; COMPUTE_PGM_RSRC2:TIDIG_COMP_CNT: 0
	.type	__hip_cuid_7d9e6a664d521912,@object ; @__hip_cuid_7d9e6a664d521912
	.section	.bss,"aw",@nobits
	.globl	__hip_cuid_7d9e6a664d521912
__hip_cuid_7d9e6a664d521912:
	.byte	0                               ; 0x0
	.size	__hip_cuid_7d9e6a664d521912, 1

	.ident	"AMD clang version 19.0.0git (https://github.com/RadeonOpenCompute/llvm-project roc-6.4.0 25133 c7fe45cf4b819c5991fe208aaa96edf142730f1d)"
	.section	".note.GNU-stack","",@progbits
	.addrsig
	.addrsig_sym __hip_cuid_7d9e6a664d521912
	.amdgpu_metadata
---
amdhsa.kernels:
  - .args:
      - .actual_access:  read_only
        .address_space:  global
        .offset:         0
        .size:           8
        .value_kind:     global_buffer
      - .offset:         8
        .size:           8
        .value_kind:     by_value
      - .actual_access:  read_only
        .address_space:  global
        .offset:         16
        .size:           8
        .value_kind:     global_buffer
      - .actual_access:  read_only
        .address_space:  global
        .offset:         24
        .size:           8
        .value_kind:     global_buffer
      - .actual_access:  read_only
        .address_space:  global
        .offset:         32
        .size:           8
        .value_kind:     global_buffer
      - .offset:         40
        .size:           8
        .value_kind:     by_value
      - .actual_access:  read_only
        .address_space:  global
        .offset:         48
        .size:           8
        .value_kind:     global_buffer
      - .actual_access:  read_only
        .address_space:  global
        .offset:         56
        .size:           8
        .value_kind:     global_buffer
      - .offset:         64
        .size:           4
        .value_kind:     by_value
      - .actual_access:  read_only
        .address_space:  global
        .offset:         72
        .size:           8
        .value_kind:     global_buffer
      - .actual_access:  read_only
        .address_space:  global
        .offset:         80
        .size:           8
        .value_kind:     global_buffer
      - .actual_access:  read_only
        .address_space:  global
        .offset:         88
        .size:           8
        .value_kind:     global_buffer
      - .actual_access:  write_only
        .address_space:  global
        .offset:         96
        .size:           8
        .value_kind:     global_buffer
    .group_segment_fixed_size: 0
    .kernarg_segment_align: 8
    .kernarg_segment_size: 104
    .language:       OpenCL C
    .language_version:
      - 2
      - 0
    .max_flat_workgroup_size: 51
    .name:           fft_rtc_back_len1683_factors_17_3_11_3_wgs_51_tpt_51_halfLds_half_op_CI_CI_unitstride_sbrr_dirReg
    .private_segment_fixed_size: 0
    .sgpr_count:     79
    .sgpr_spill_count: 0
    .symbol:         fft_rtc_back_len1683_factors_17_3_11_3_wgs_51_tpt_51_halfLds_half_op_CI_CI_unitstride_sbrr_dirReg.kd
    .uniform_work_group_size: 1
    .uses_dynamic_stack: false
    .vgpr_count:     126
    .vgpr_spill_count: 0
    .wavefront_size: 64
amdhsa.target:   amdgcn-amd-amdhsa--gfx906
amdhsa.version:
  - 1
  - 2
...

	.end_amdgpu_metadata
